;; amdgpu-corpus repo=ROCm/rocFFT kind=compiled arch=gfx950 opt=O3
	.text
	.amdgcn_target "amdgcn-amd-amdhsa--gfx950"
	.amdhsa_code_object_version 6
	.protected	fft_rtc_back_len864_factors_3_6_16_3_wgs_54_tpt_54_halfLds_sp_ip_CI_sbrr_dirReg ; -- Begin function fft_rtc_back_len864_factors_3_6_16_3_wgs_54_tpt_54_halfLds_sp_ip_CI_sbrr_dirReg
	.globl	fft_rtc_back_len864_factors_3_6_16_3_wgs_54_tpt_54_halfLds_sp_ip_CI_sbrr_dirReg
	.p2align	8
	.type	fft_rtc_back_len864_factors_3_6_16_3_wgs_54_tpt_54_halfLds_sp_ip_CI_sbrr_dirReg,@function
fft_rtc_back_len864_factors_3_6_16_3_wgs_54_tpt_54_halfLds_sp_ip_CI_sbrr_dirReg: ; @fft_rtc_back_len864_factors_3_6_16_3_wgs_54_tpt_54_halfLds_sp_ip_CI_sbrr_dirReg
; %bb.0:
	s_load_dwordx2 s[6:7], s[0:1], 0x18
	s_load_dwordx4 s[8:11], s[0:1], 0x0
	s_load_dwordx2 s[4:5], s[0:1], 0x50
	v_mul_u32_u24_e32 v1, 0x4be, v0
	v_add_u32_sdwa v6, s2, v1 dst_sel:DWORD dst_unused:UNUSED_PAD src0_sel:DWORD src1_sel:WORD_1
	s_waitcnt lgkmcnt(0)
	s_load_dwordx2 s[12:13], s[6:7], 0x0
	v_mov_b32_e32 v4, 0
	v_cmp_lt_u64_e64 s[2:3], s[10:11], 2
	v_mov_b32_e32 v7, v4
	s_and_b64 vcc, exec, s[2:3]
	v_mov_b64_e32 v[2:3], 0
	s_cbranch_vccnz .LBB0_8
; %bb.1:
	s_load_dwordx2 s[2:3], s[0:1], 0x10
	s_add_u32 s14, s6, 8
	s_addc_u32 s15, s7, 0
	s_mov_b64 s[16:17], 1
	v_mov_b64_e32 v[2:3], 0
	s_waitcnt lgkmcnt(0)
	s_add_u32 s18, s2, 8
	s_addc_u32 s19, s3, 0
.LBB0_2:                                ; =>This Inner Loop Header: Depth=1
	s_load_dwordx2 s[20:21], s[18:19], 0x0
                                        ; implicit-def: $vgpr8_vgpr9
	s_waitcnt lgkmcnt(0)
	v_or_b32_e32 v5, s21, v7
	v_cmp_ne_u64_e32 vcc, 0, v[4:5]
	s_and_saveexec_b64 s[2:3], vcc
	s_xor_b64 s[22:23], exec, s[2:3]
	s_cbranch_execz .LBB0_4
; %bb.3:                                ;   in Loop: Header=BB0_2 Depth=1
	v_cvt_f32_u32_e32 v1, s20
	v_cvt_f32_u32_e32 v5, s21
	s_sub_u32 s2, 0, s20
	s_subb_u32 s3, 0, s21
	v_fmac_f32_e32 v1, 0x4f800000, v5
	v_rcp_f32_e32 v1, v1
	s_nop 0
	v_mul_f32_e32 v1, 0x5f7ffffc, v1
	v_mul_f32_e32 v5, 0x2f800000, v1
	v_trunc_f32_e32 v5, v5
	v_fmac_f32_e32 v1, 0xcf800000, v5
	v_cvt_u32_f32_e32 v5, v5
	v_cvt_u32_f32_e32 v1, v1
	v_mul_lo_u32 v8, s2, v5
	v_mul_hi_u32 v10, s2, v1
	v_mul_lo_u32 v9, s3, v1
	v_add_u32_e32 v10, v10, v8
	v_mul_lo_u32 v12, s2, v1
	v_add_u32_e32 v13, v10, v9
	v_mul_hi_u32 v8, v1, v12
	v_mul_hi_u32 v11, v1, v13
	v_mul_lo_u32 v10, v1, v13
	v_mov_b32_e32 v9, v4
	v_lshl_add_u64 v[8:9], v[8:9], 0, v[10:11]
	v_mul_hi_u32 v11, v5, v12
	v_mul_lo_u32 v12, v5, v12
	v_add_co_u32_e32 v8, vcc, v8, v12
	v_mul_hi_u32 v10, v5, v13
	s_nop 0
	v_addc_co_u32_e32 v8, vcc, v9, v11, vcc
	v_mov_b32_e32 v9, v4
	s_nop 0
	v_addc_co_u32_e32 v11, vcc, 0, v10, vcc
	v_mul_lo_u32 v10, v5, v13
	v_lshl_add_u64 v[8:9], v[8:9], 0, v[10:11]
	v_add_co_u32_e32 v1, vcc, v1, v8
	v_mul_lo_u32 v10, s2, v1
	s_nop 0
	v_addc_co_u32_e32 v5, vcc, v5, v9, vcc
	v_mul_lo_u32 v8, s2, v5
	v_mul_hi_u32 v9, s2, v1
	v_add_u32_e32 v8, v9, v8
	v_mul_lo_u32 v9, s3, v1
	v_add_u32_e32 v12, v8, v9
	v_mul_hi_u32 v14, v5, v10
	v_mul_lo_u32 v15, v5, v10
	v_mul_hi_u32 v9, v1, v12
	v_mul_lo_u32 v8, v1, v12
	v_mul_hi_u32 v10, v1, v10
	v_mov_b32_e32 v11, v4
	v_lshl_add_u64 v[8:9], v[10:11], 0, v[8:9]
	v_add_co_u32_e32 v8, vcc, v8, v15
	v_mul_hi_u32 v13, v5, v12
	s_nop 0
	v_addc_co_u32_e32 v8, vcc, v9, v14, vcc
	v_mul_lo_u32 v10, v5, v12
	s_nop 0
	v_addc_co_u32_e32 v11, vcc, 0, v13, vcc
	v_mov_b32_e32 v9, v4
	v_lshl_add_u64 v[8:9], v[8:9], 0, v[10:11]
	v_add_co_u32_e32 v1, vcc, v1, v8
	v_mul_hi_u32 v10, v6, v1
	s_nop 0
	v_addc_co_u32_e32 v5, vcc, v5, v9, vcc
	v_mad_u64_u32 v[8:9], s[2:3], v6, v5, 0
	v_mov_b32_e32 v11, v4
	v_lshl_add_u64 v[8:9], v[10:11], 0, v[8:9]
	v_mad_u64_u32 v[12:13], s[2:3], v7, v1, 0
	v_add_co_u32_e32 v1, vcc, v8, v12
	v_mad_u64_u32 v[10:11], s[2:3], v7, v5, 0
	s_nop 0
	v_addc_co_u32_e32 v8, vcc, v9, v13, vcc
	v_mov_b32_e32 v9, v4
	s_nop 0
	v_addc_co_u32_e32 v11, vcc, 0, v11, vcc
	v_lshl_add_u64 v[8:9], v[8:9], 0, v[10:11]
	v_mul_lo_u32 v1, s21, v8
	v_mul_lo_u32 v5, s20, v9
	v_mad_u64_u32 v[10:11], s[2:3], s20, v8, 0
	v_add3_u32 v1, v11, v5, v1
	v_sub_u32_e32 v5, v7, v1
	v_mov_b32_e32 v11, s21
	v_sub_co_u32_e32 v14, vcc, v6, v10
	v_lshl_add_u64 v[12:13], v[8:9], 0, 1
	s_nop 0
	v_subb_co_u32_e64 v5, s[2:3], v5, v11, vcc
	v_subrev_co_u32_e64 v10, s[2:3], s20, v14
	v_subb_co_u32_e32 v1, vcc, v7, v1, vcc
	s_nop 0
	v_subbrev_co_u32_e64 v5, s[2:3], 0, v5, s[2:3]
	v_cmp_le_u32_e64 s[2:3], s21, v5
	v_cmp_le_u32_e32 vcc, s21, v1
	s_nop 0
	v_cndmask_b32_e64 v11, 0, -1, s[2:3]
	v_cmp_le_u32_e64 s[2:3], s20, v10
	s_nop 1
	v_cndmask_b32_e64 v10, 0, -1, s[2:3]
	v_cmp_eq_u32_e64 s[2:3], s21, v5
	s_nop 1
	v_cndmask_b32_e64 v5, v11, v10, s[2:3]
	v_lshl_add_u64 v[10:11], v[8:9], 0, 2
	v_cmp_ne_u32_e64 s[2:3], 0, v5
	s_nop 1
	v_cndmask_b32_e64 v5, v13, v11, s[2:3]
	v_cndmask_b32_e64 v11, 0, -1, vcc
	v_cmp_le_u32_e32 vcc, s20, v14
	s_nop 1
	v_cndmask_b32_e64 v13, 0, -1, vcc
	v_cmp_eq_u32_e32 vcc, s21, v1
	s_nop 1
	v_cndmask_b32_e32 v1, v11, v13, vcc
	v_cmp_ne_u32_e32 vcc, 0, v1
	v_cndmask_b32_e64 v1, v12, v10, s[2:3]
	s_nop 0
	v_cndmask_b32_e32 v9, v9, v5, vcc
	v_cndmask_b32_e32 v8, v8, v1, vcc
.LBB0_4:                                ;   in Loop: Header=BB0_2 Depth=1
	s_andn2_saveexec_b64 s[2:3], s[22:23]
	s_cbranch_execz .LBB0_6
; %bb.5:                                ;   in Loop: Header=BB0_2 Depth=1
	v_cvt_f32_u32_e32 v1, s20
	s_sub_i32 s22, 0, s20
	v_rcp_iflag_f32_e32 v1, v1
	s_nop 0
	v_mul_f32_e32 v1, 0x4f7ffffe, v1
	v_cvt_u32_f32_e32 v1, v1
	v_mul_lo_u32 v5, s22, v1
	v_mul_hi_u32 v5, v1, v5
	v_add_u32_e32 v1, v1, v5
	v_mul_hi_u32 v1, v6, v1
	v_mul_lo_u32 v5, v1, s20
	v_sub_u32_e32 v5, v6, v5
	v_add_u32_e32 v8, 1, v1
	v_subrev_u32_e32 v9, s20, v5
	v_cmp_le_u32_e32 vcc, s20, v5
	s_nop 1
	v_cndmask_b32_e32 v5, v5, v9, vcc
	v_cndmask_b32_e32 v1, v1, v8, vcc
	v_add_u32_e32 v8, 1, v1
	v_cmp_le_u32_e32 vcc, s20, v5
	v_mov_b32_e32 v9, v4
	s_nop 0
	v_cndmask_b32_e32 v8, v1, v8, vcc
.LBB0_6:                                ;   in Loop: Header=BB0_2 Depth=1
	s_or_b64 exec, exec, s[2:3]
	v_mad_u64_u32 v[10:11], s[2:3], v8, s20, 0
	s_load_dwordx2 s[2:3], s[14:15], 0x0
	v_mul_lo_u32 v1, v9, s20
	v_mul_lo_u32 v5, v8, s21
	v_add3_u32 v1, v11, v5, v1
	v_sub_co_u32_e32 v5, vcc, v6, v10
	s_add_u32 s16, s16, 1
	s_nop 0
	v_subb_co_u32_e32 v1, vcc, v7, v1, vcc
	s_addc_u32 s17, s17, 0
	s_waitcnt lgkmcnt(0)
	v_mul_lo_u32 v1, s2, v1
	v_mul_lo_u32 v6, s3, v5
	v_mad_u64_u32 v[2:3], s[2:3], s2, v5, v[2:3]
	s_add_u32 s14, s14, 8
	v_add3_u32 v3, v6, v3, v1
	s_addc_u32 s15, s15, 0
	v_mov_b64_e32 v[6:7], s[10:11]
	s_add_u32 s18, s18, 8
	v_cmp_ge_u64_e32 vcc, s[16:17], v[6:7]
	s_addc_u32 s19, s19, 0
	s_cbranch_vccnz .LBB0_9
; %bb.7:                                ;   in Loop: Header=BB0_2 Depth=1
	v_mov_b64_e32 v[6:7], v[8:9]
	s_branch .LBB0_2
.LBB0_8:
	v_mov_b64_e32 v[8:9], v[6:7]
.LBB0_9:
	s_lshl_b64 s[2:3], s[10:11], 3
	s_add_u32 s2, s6, s2
	s_addc_u32 s3, s7, s3
	s_load_dwordx2 s[6:7], s[2:3], 0x0
	s_load_dwordx2 s[10:11], s[0:1], 0x20
	s_mov_b32 s2, 0x4bda130
                                        ; implicit-def: $vgpr75
                                        ; implicit-def: $vgpr72
                                        ; implicit-def: $vgpr73
                                        ; implicit-def: $vgpr74
	s_waitcnt lgkmcnt(0)
	v_mul_lo_u32 v1, s6, v9
	v_mul_lo_u32 v4, s7, v8
	v_mad_u64_u32 v[2:3], s[0:1], s6, v8, v[2:3]
	v_add3_u32 v3, v4, v3, v1
	v_mul_hi_u32 v1, v0, s2
	v_mul_u32_u24_e32 v1, 54, v1
	v_sub_u32_e32 v70, v0, v1
	v_cmp_gt_u64_e32 vcc, s[10:11], v[8:9]
	v_cmp_le_u64_e64 s[0:1], s[10:11], v[8:9]
	v_add_u32_e32 v71, 54, v70
	s_and_saveexec_b64 s[2:3], s[0:1]
	s_xor_b64 s[0:1], exec, s[2:3]
; %bb.10:
	v_add_u32_e32 v75, 54, v70
	v_add_u32_e32 v72, 0x6c, v70
	;; [unrolled: 1-line block ×4, first 2 shown]
; %bb.11:
	s_or_saveexec_b64 s[2:3], s[0:1]
	v_lshl_add_u64 v[16:17], v[2:3], 3, s[4:5]
                                        ; implicit-def: $vgpr49
                                        ; implicit-def: $vgpr28
                                        ; implicit-def: $vgpr47
                                        ; implicit-def: $vgpr43
                                        ; implicit-def: $vgpr44
                                        ; implicit-def: $vgpr12
                                        ; implicit-def: $vgpr10
                                        ; implicit-def: $vgpr68
                                        ; implicit-def: $vgpr14
                                        ; implicit-def: $vgpr8
                                        ; implicit-def: $vgpr22
                                        ; implicit-def: $vgpr66
                                        ; implicit-def: $vgpr24
                                        ; implicit-def: $vgpr20
                                        ; implicit-def: $vgpr18
                                        ; implicit-def: $vgpr64
                                        ; implicit-def: $vgpr36
                                        ; implicit-def: $vgpr32
                                        ; implicit-def: $vgpr30
                                        ; implicit-def: $vgpr62
                                        ; implicit-def: $vgpr34
                                        ; implicit-def: $vgpr38
                                        ; implicit-def: $vgpr60
	s_xor_b64 exec, exec, s[2:3]
	s_cbranch_execz .LBB0_15
; %bb.12:
	v_mad_u64_u32 v[0:1], s[0:1], s12, v70, 0
	v_mov_b32_e32 v2, v1
	v_mad_u64_u32 v[2:3], s[0:1], s13, v70, v[2:3]
	v_add_u32_e32 v5, 0x120, v70
	v_mov_b32_e32 v1, v2
	v_mad_u64_u32 v[2:3], s[0:1], s12, v5, 0
	v_mov_b32_e32 v4, v3
	v_mad_u64_u32 v[4:5], s[0:1], s13, v5, v[4:5]
	v_or_b32_e32 v7, 0x240, v70
	v_mov_b32_e32 v3, v4
	v_mad_u64_u32 v[4:5], s[0:1], s12, v7, 0
	v_mov_b32_e32 v6, v5
	v_mad_u64_u32 v[6:7], s[0:1], s13, v7, v[6:7]
	;; [unrolled: 2-line block ×4, first 2 shown]
	v_lshl_add_u64 v[0:1], v[0:1], 3, v[16:17]
	v_lshl_add_u64 v[2:3], v[2:3], 3, v[16:17]
	v_mov_b32_e32 v7, v8
	v_lshl_add_u64 v[4:5], v[4:5], 3, v[16:17]
	v_lshl_add_u64 v[6:7], v[6:7], 3, v[16:17]
	global_load_dwordx2 v[12:13], v[0:1], off
	global_load_dwordx2 v[10:11], v[2:3], off
	;; [unrolled: 1-line block ×4, first 2 shown]
	v_add_u32_e32 v3, 0x156, v70
	v_mad_u64_u32 v[0:1], s[0:1], s12, v3, 0
	v_mov_b32_e32 v2, v1
	v_mad_u64_u32 v[2:3], s[0:1], s13, v3, v[2:3]
	v_add_u32_e32 v5, 0x276, v70
	v_mov_b32_e32 v1, v2
	v_mad_u64_u32 v[2:3], s[0:1], s12, v5, 0
	v_mov_b32_e32 v4, v3
	v_mad_u64_u32 v[4:5], s[0:1], s13, v5, v[4:5]
	v_add_u32_e32 v72, 0x6c, v70
	v_mov_b32_e32 v3, v4
	;; [unrolled: 5-line block ×3, first 2 shown]
	v_mad_u64_u32 v[6:7], s[0:1], s12, v19, 0
	v_mov_b32_e32 v18, v7
	v_mad_u64_u32 v[18:19], s[0:1], s13, v19, v[18:19]
	v_lshl_add_u64 v[0:1], v[0:1], 3, v[16:17]
	v_lshl_add_u64 v[2:3], v[2:3], 3, v[16:17]
	v_mov_b32_e32 v7, v18
	v_lshl_add_u64 v[4:5], v[4:5], 3, v[16:17]
	v_lshl_add_u64 v[6:7], v[6:7], 3, v[16:17]
	global_load_dwordx2 v[22:23], v[0:1], off
	global_load_dwordx2 v[24:25], v[2:3], off
	;; [unrolled: 1-line block ×4, first 2 shown]
	v_add_u32_e32 v3, 0x2ac, v70
	v_mad_u64_u32 v[0:1], s[0:1], s12, v3, 0
	v_mov_b32_e32 v2, v1
	v_mad_u64_u32 v[2:3], s[0:1], s13, v3, v[2:3]
	v_add_u32_e32 v73, 0xa2, v70
	v_mov_b32_e32 v1, v2
	v_mad_u64_u32 v[2:3], s[0:1], s12, v73, 0
	v_mov_b32_e32 v4, v3
	v_mad_u64_u32 v[4:5], s[0:1], s13, v73, v[4:5]
	v_add_u32_e32 v7, 0x1c2, v70
	v_mov_b32_e32 v3, v4
	v_mad_u64_u32 v[4:5], s[0:1], s12, v7, 0
	v_mov_b32_e32 v6, v5
	v_mad_u64_u32 v[6:7], s[0:1], s13, v7, v[6:7]
	v_add_u32_e32 v27, 0x2e2, v70
	v_mov_b32_e32 v5, v6
	v_mad_u64_u32 v[6:7], s[0:1], s12, v27, 0
	v_mov_b32_e32 v26, v7
	v_mad_u64_u32 v[26:27], s[0:1], s13, v27, v[26:27]
	v_lshl_add_u64 v[0:1], v[0:1], 3, v[16:17]
	v_mov_b32_e32 v7, v26
	v_add_u32_e32 v74, 0xd8, v70
	v_lshl_add_u64 v[2:3], v[2:3], 3, v[16:17]
	v_lshl_add_u64 v[4:5], v[4:5], 3, v[16:17]
	;; [unrolled: 1-line block ×3, first 2 shown]
	global_load_dwordx2 v[36:37], v[0:1], off
	global_load_dwordx2 v[32:33], v[2:3], off
	;; [unrolled: 1-line block ×4, first 2 shown]
	v_mad_u64_u32 v[0:1], s[0:1], s12, v74, 0
	v_mov_b32_e32 v2, v1
	v_mad_u64_u32 v[2:3], s[0:1], s13, v74, v[2:3]
	v_mov_b32_e32 v1, v2
	v_add_u32_e32 v3, 0x1f8, v70
	v_lshl_add_u64 v[4:5], v[0:1], 3, v[16:17]
	v_mad_u64_u32 v[0:1], s[0:1], s12, v3, 0
	v_mov_b32_e32 v2, v1
	v_mad_u64_u32 v[2:3], s[0:1], s13, v3, v[2:3]
	v_mov_b32_e32 v1, v2
	v_add_u32_e32 v3, 0x318, v70
	v_lshl_add_u64 v[6:7], v[0:1], 3, v[16:17]
	v_mad_u64_u32 v[0:1], s[0:1], s12, v3, 0
	v_mov_b32_e32 v2, v1
	v_mad_u64_u32 v[2:3], s[0:1], s13, v3, v[2:3]
	v_mov_b32_e32 v1, v2
	v_lshl_add_u64 v[26:27], v[0:1], 3, v[16:17]
	global_load_dwordx2 v[38:39], v[4:5], off
	global_load_dwordx2 v[2:3], v[6:7], off
	;; [unrolled: 1-line block ×3, first 2 shown]
	v_cmp_gt_u32_e64 s[0:1], 18, v70
                                        ; implicit-def: $vgpr45
                                        ; implicit-def: $vgpr43
                                        ; implicit-def: $vgpr47
                                        ; implicit-def: $vgpr28
                                        ; implicit-def: $vgpr49
	s_and_saveexec_b64 s[4:5], s[0:1]
	s_cbranch_execz .LBB0_14
; %bb.13:
	v_add_u32_e32 v7, 0x10e, v70
	v_mad_u64_u32 v[4:5], s[0:1], s12, v7, 0
	v_mov_b32_e32 v6, v5
	v_mad_u64_u32 v[6:7], s[0:1], s13, v7, v[6:7]
	v_add_u32_e32 v27, 0x22e, v70
	v_mov_b32_e32 v5, v6
	v_mad_u64_u32 v[6:7], s[0:1], s12, v27, 0
	v_mov_b32_e32 v26, v7
	v_mad_u64_u32 v[26:27], s[0:1], s13, v27, v[26:27]
	v_add_u32_e32 v29, 0x34e, v70
	v_mov_b32_e32 v7, v26
	v_mad_u64_u32 v[26:27], s[0:1], s12, v29, 0
	v_mov_b32_e32 v28, v27
	v_mad_u64_u32 v[28:29], s[0:1], s13, v29, v[28:29]
	v_lshl_add_u64 v[6:7], v[6:7], 3, v[16:17]
	v_mov_b32_e32 v27, v28
	v_lshl_add_u64 v[26:27], v[26:27], 3, v[16:17]
	global_load_dwordx2 v[42:43], v[6:7], off
	global_load_dwordx2 v[40:41], v[26:27], off
	v_lshl_add_u64 v[4:5], v[4:5], 3, v[16:17]
	global_load_dwordx2 v[44:45], v[4:5], off
	s_waitcnt vmcnt(2)
	v_mov_b32_e32 v47, v42
	s_waitcnt vmcnt(1)
	v_mov_b32_e32 v28, v41
	v_mov_b32_e32 v49, v40
.LBB0_14:
	s_or_b64 exec, exec, s[4:5]
	v_mov_b32_e32 v75, v71
	s_waitcnt vmcnt(13)
	v_mov_b32_e32 v68, v11
	s_waitcnt vmcnt(12)
	;; [unrolled: 2-line block ×9, first 2 shown]
	v_mov_b32_e32 v48, v2
	v_mov_b32_e32 v60, v3
	s_waitcnt vmcnt(0)
	v_mov_b32_e32 v46, v0
	v_mov_b32_e32 v61, v1
.LBB0_15:
	s_or_b64 exec, exec, s[2:3]
	v_add_f32_e32 v0, v14, v10
	v_mul_f32_e32 v11, 0.5, v0
	v_add_f32_e32 v0, v24, v22
	v_sub_f32_e32 v4, v68, v69
	v_mul_f32_e32 v23, 0.5, v0
	v_add_f32_e32 v0, v36, v18
	v_mul_f32_e32 v15, 0x3f5db3d7, v4
	v_mul_f32_e32 v19, 0.5, v0
	v_pk_add_f32 v[0:1], v[12:13], v[10:11] op_sel_hi:[0,1] neg_lo:[0,1] neg_hi:[0,1]
	v_pk_add_f32 v[2:3], v[0:1], v[14:15] neg_lo:[0,1] neg_hi:[0,1]
	v_fmac_f32_e32 v1, 0x3f5db3d7, v4
	v_pk_add_f32 v[4:5], v[12:13], v[10:11]
	v_sub_f32_e32 v6, v66, v67
	v_mad_u32_u24 v77, v70, 12, 0
	v_pk_add_f32 v[4:5], v[4:5], v[14:15]
	v_mul_f32_e32 v25, 0x3f5db3d7, v6
	ds_write2_b32 v77, v4, v3 offset1:1
	ds_write_b32 v77, v1 offset:8
	v_pk_add_f32 v[0:1], v[8:9], v[22:23] op_sel_hi:[0,1] neg_lo:[0,1] neg_hi:[0,1]
	v_pk_add_f32 v[4:5], v[8:9], v[22:23]
	v_sub_f32_e32 v7, v64, v65
	v_mad_i32_i24 v15, v75, 12, 0
	v_pk_add_f32 v[2:3], v[0:1], v[24:25] neg_lo:[0,1] neg_hi:[0,1]
	v_fmac_f32_e32 v1, 0x3f5db3d7, v6
	v_pk_add_f32 v[4:5], v[4:5], v[24:25]
	v_mul_f32_e32 v37, 0x3f5db3d7, v7
	ds_write2_b32 v15, v4, v3 offset1:1
	ds_write_b32 v15, v1 offset:8
	v_pk_add_f32 v[0:1], v[20:21], v[18:19]
	v_pk_add_f32 v[2:3], v[20:21], v[18:19] op_sel_hi:[0,1] neg_lo:[0,1] neg_hi:[0,1]
	v_pk_add_f32 v[0:1], v[0:1], v[36:37]
	v_pk_add_f32 v[4:5], v[2:3], v[36:37] neg_lo:[0,1] neg_hi:[0,1]
	v_mad_i32_i24 v37, v72, 12, 0
	ds_write2_b32 v37, v0, v5 offset1:1
	v_add_f32_e32 v0, v34, v30
	v_mul_f32_e32 v31, 0.5, v0
	v_sub_f32_e32 v6, v62, v63
	v_fmac_f32_e32 v3, 0x3f5db3d7, v7
	v_mul_f32_e32 v35, 0x3f5db3d7, v6
	ds_write_b32 v37, v3 offset:8
	v_pk_add_f32 v[0:1], v[32:33], v[30:31]
	v_pk_add_f32 v[2:3], v[32:33], v[30:31] op_sel_hi:[0,1] neg_lo:[0,1] neg_hi:[0,1]
	v_pk_add_f32 v[0:1], v[0:1], v[34:35]
	v_pk_add_f32 v[4:5], v[2:3], v[34:35] neg_lo:[0,1] neg_hi:[0,1]
	v_mad_i32_i24 v2, v73, 12, 0
	v_fmac_f32_e32 v3, 0x3f5db3d7, v6
	ds_write2_b32 v2, v0, v5 offset1:1
	ds_write_b32 v2, v3 offset:8
	v_pk_add_f32 v[2:3], v[48:49], v[46:47]
	v_mov_b32_e32 v4, v38
	v_mov_b32_e32 v5, v44
	v_pk_fma_f32 v[2:3], -0.5, v[2:3], v[4:5] op_sel_hi:[0,1,1]
	v_mov_b32_e32 v42, v60
	v_mov_b32_e32 v4, v61
	;; [unrolled: 1-line block ×3, first 2 shown]
	s_mov_b32 s0, 0x3f5db3d7
	v_pk_add_f32 v[6:7], v[42:43], v[4:5] neg_lo:[0,1] neg_hi:[0,1]
	v_pk_add_f32 v[0:1], v[48:49], v[38:39]
	v_pk_mul_f32 v[4:5], v[6:7], s[0:1] op_sel_hi:[1,0]
	v_pk_fma_f32 v[40:41], v[6:7], s[0:1], v[2:3] op_sel_hi:[1,0,1]
	v_mov_b32_e32 v1, v5
	v_pk_fma_f32 v[4:5], v[6:7], s[0:1], v[2:3] op_sel_hi:[1,0,1] neg_lo:[1,0,0] neg_hi:[1,0,0]
	v_mov_b32_e32 v2, v46
	v_pk_add_f32 v[0:1], v[0:1], v[2:3]
	v_add_f32_e32 v2, v47, v44
	v_mad_i32_i24 v6, v74, 12, 0
	v_mov_b32_e32 v41, v5
	v_cmp_lt_u32_e64 s[2:3], 17, v70
	v_cmp_gt_u32_e64 s[0:1], 18, v70
	v_add_f32_e32 v2, v49, v2
	v_mov_b32_e32 v3, v4
	ds_write2_b32 v6, v0, v4 offset1:1
	ds_write_b32 v6, v40 offset:8
	s_and_saveexec_b64 s[4:5], s[0:1]
	s_cbranch_execz .LBB0_17
; %bb.16:
	v_add_u32_e32 v5, 0xcac, v77
	ds_write_b32 v77, v2 offset:3240
	v_mov_b32_e32 v3, v1
	ds_write2_b32 v5, v41, v1 offset1:1
.LBB0_17:
	s_or_b64 exec, exec, s[4:5]
	v_lshlrev_b32_e32 v3, 3, v70
	v_sub_u32_e32 v76, v77, v3
	v_add_u32_e32 v3, 0x200, v76
	s_waitcnt lgkmcnt(0)
	; wave barrier
	s_waitcnt lgkmcnt(0)
	ds_read2_b32 v[56:57], v3 offset0:70 offset1:160
	v_add_u32_e32 v3, 0x400, v76
	ds_read2_b32 v[54:55], v3 offset0:86 offset1:176
	v_add_u32_e32 v3, 0x600, v76
	;; [unrolled: 2-line block ×3, first 2 shown]
	v_lshlrev_b32_e32 v23, 3, v75
	ds_read2_b32 v[50:51], v3 offset0:118 offset1:208
	v_sub_u32_e32 v3, v15, v23
	ds_read2_b32 v[26:27], v76 offset1:144
	ds_read_b32 v31, v3
	ds_read_b32 v35, v76 offset:3096
	v_cmp_gt_u32_e64 s[4:5], 36, v70
	v_cmp_lt_u32_e64 s[6:7], 35, v70
                                        ; implicit-def: $vgpr6_vgpr7
                                        ; implicit-def: $vgpr58_vgpr59
	s_and_saveexec_b64 s[10:11], s[6:7]
	s_xor_b64 s[10:11], exec, s[10:11]
; %bb.18:
	v_mov_b64_e32 v[6:7], v[0:1]
	v_mov_b64_e32 v[58:59], v[40:41]
; %bb.19:
	s_or_saveexec_b64 s[10:11], s[10:11]
	v_mul_i32_i24_e32 v25, 12, v73
	v_mul_i32_i24_e32 v1, 12, v74
	v_lshlrev_b32_e32 v42, 3, v72
	s_xor_b64 exec, exec, s[10:11]
	s_cbranch_execz .LBB0_21
; %bb.20:
	v_add_u32_e32 v0, 0x300, v76
	ds_read2_b32 v[4:5], v0 offset0:60 offset1:204
	v_add_u32_e32 v0, 0x800, v76
	ds_read2_b32 v[2:3], v0 offset0:28 offset1:172
	v_sub_u32_e32 v0, v37, v42
	ds_read_b32 v6, v0
	ds_read_b32 v7, v76 offset:3312
	s_waitcnt lgkmcnt(3)
	v_mov_b32_e32 v58, v5
	v_mov_b32_e32 v40, v5
	s_waitcnt lgkmcnt(2)
	v_mov_b32_e32 v59, v3
	v_mov_b32_e32 v41, v3
	s_waitcnt lgkmcnt(1)
	v_mov_b32_e32 v0, v6
.LBB0_21:
	s_or_b64 exec, exec, s[10:11]
	v_add_f32_e32 v3, v69, v68
	v_mul_f32_e32 v79, 0.5, v3
	v_mov_b32_e32 v78, v68
	v_pk_add_f32 v[80:81], v[12:13], v[68:69] op_sel:[1,0]
	v_pk_add_f32 v[12:13], v[12:13], v[78:79] op_sel:[1,0] neg_lo:[0,1] neg_hi:[0,1]
	v_sub_f32_e32 v3, v10, v14
	v_mov_b32_e32 v81, v13
	v_mul_f32_e32 v11, 0x3f5db3d7, v3
	v_mov_b32_e32 v10, v69
	v_fmac_f32_e32 v13, 0xbf5db3d7, v3
	v_add_f32_e32 v3, v67, v66
	v_pk_add_f32 v[68:69], v[80:81], v[10:11]
	v_mul_f32_e32 v11, 0.5, v3
	v_mov_b32_e32 v10, v66
	v_pk_add_f32 v[78:79], v[8:9], v[66:67] op_sel:[1,0]
	v_pk_add_f32 v[80:81], v[8:9], v[10:11] op_sel:[1,0] neg_lo:[0,1] neg_hi:[0,1]
	v_sub_f32_e32 v3, v22, v24
	v_mov_b32_e32 v79, v81
	v_mul_f32_e32 v9, 0x3f5db3d7, v3
	v_mov_b32_e32 v8, v67
	v_fmac_f32_e32 v81, 0xbf5db3d7, v3
	v_add_f32_e32 v3, v65, v64
	v_pk_add_f32 v[66:67], v[78:79], v[8:9]
	;; [unrolled: 11-line block ×4, first 2 shown]
	v_mul_f32_e32 v9, 0.5, v3
	v_mov_b32_e32 v8, v60
	v_add_f32_e32 v3, v28, v43
	v_pk_add_f32 v[18:19], v[38:39], v[60:61] op_sel:[1,0]
	v_pk_add_f32 v[38:39], v[38:39], v[8:9] neg_lo:[0,1] neg_hi:[0,1]
	v_mul_f32_e32 v9, 0.5, v3
	v_mov_b32_e32 v8, v43
	v_mov_b32_e32 v10, v43
	v_pk_add_f32 v[78:79], v[44:45], v[8:9] neg_lo:[0,1] neg_hi:[0,1]
	v_mov_b32_e32 v8, v48
	v_mov_b32_e32 v9, v47
	v_mov_b32_e32 v47, v49
	s_mov_b32 s10, 0x3f5db3d7
	v_pk_add_f32 v[10:11], v[44:45], v[10:11] op_sel:[1,0]
	v_pk_add_f32 v[44:45], v[8:9], v[46:47] neg_lo:[0,1] neg_hi:[0,1]
	v_mov_b32_e32 v19, v39
	v_pk_mul_f32 v[46:47], v[44:45], s[10:11] op_sel_hi:[1,0]
	v_mov_b32_e32 v8, v61
	v_mov_b32_e32 v9, v46
	v_mov_b32_e32 v78, v39
	v_pk_add_f32 v[8:9], v[18:19], v[8:9]
	v_pk_fma_f32 v[18:19], v[44:45], s[10:11], v[78:79] op_sel_hi:[1,0,1] neg_lo:[1,0,0] neg_hi:[1,0,0]
	v_add_u32_e32 v3, 0, v25
	v_add_u32_e32 v1, 0, v1
	v_mov_b32_e32 v11, v79
	v_mov_b32_e32 v29, v47
	s_waitcnt lgkmcnt(0)
	; wave barrier
	s_waitcnt lgkmcnt(0)
	ds_write2_b32 v77, v68, v69 offset1:1
	ds_write_b32 v77, v13 offset:8
	ds_write2_b32 v15, v66, v67 offset1:1
	ds_write_b32 v15, v81 offset:8
	;; [unrolled: 2-line block ×5, first 2 shown]
	s_and_saveexec_b64 s[10:11], s[2:3]
	s_xor_b64 s[10:11], exec, s[10:11]
	s_or_saveexec_b64 s[10:11], s[10:11]
	v_sub_u32_e32 v1, 0, v23
	v_pk_add_f32 v[12:13], v[28:29], v[10:11]
	v_add_u32_e32 v46, 0x10e, v70
	s_xor_b64 exec, exec, s[10:11]
	s_cbranch_execz .LBB0_23
; %bb.22:
	v_mad_u32_u24 v3, v46, 12, 0
	ds_write2_b32 v3, v12, v13 offset1:1
	ds_write_b32 v3, v19 offset:8
.LBB0_23:
	s_or_b64 exec, exec, s[10:11]
	v_add_u32_e32 v3, 0x200, v76
	s_waitcnt lgkmcnt(0)
	; wave barrier
	s_waitcnt lgkmcnt(0)
	ds_read2_b32 v[28:29], v3 offset0:70 offset1:160
	v_add_u32_e32 v3, 0x400, v76
	ds_read2_b32 v[24:25], v3 offset0:86 offset1:176
	v_add_u32_e32 v3, 0x600, v76
	;; [unrolled: 2-line block ×3, first 2 shown]
	v_add_u32_e32 v47, v15, v1
	ds_read2_b32 v[10:11], v76 offset1:144
	ds_read2_b32 v[20:21], v3 offset0:118 offset1:208
	ds_read_b32 v1, v47
	ds_read_b32 v3, v76 offset:3096
                                        ; implicit-def: $vgpr14_vgpr15
	s_and_saveexec_b64 s[10:11], s[6:7]
	s_xor_b64 s[6:7], exec, s[10:11]
; %bb.24:
	v_mov_b64_e32 v[14:15], v[18:19]
                                        ; implicit-def: $vgpr37
                                        ; implicit-def: $vgpr42
; %bb.25:
	s_andn2_saveexec_b64 s[6:7], s[6:7]
	s_cbranch_execz .LBB0_27
; %bb.26:
	v_add_u32_e32 v8, 0x300, v76
	ds_read2_b32 v[18:19], v8 offset0:60 offset1:204
	v_add_u32_e32 v8, 0x800, v76
	v_sub_u32_e32 v5, v37, v42
	ds_read2_b32 v[12:13], v8 offset0:28 offset1:172
	ds_read_b32 v8, v5
	ds_read_b32 v15, v76 offset:3312
	s_waitcnt lgkmcnt(3)
	v_mov_b32_e32 v9, v18
	v_mov_b32_e32 v14, v19
	;; [unrolled: 1-line block ×3, first 2 shown]
.LBB0_27:
	s_or_b64 exec, exec, s[6:7]
	s_movk_i32 s6, 0xab
	v_mul_lo_u16_sdwa v5, v70, s6 dst_sel:DWORD dst_unused:UNUSED_PAD src0_sel:BYTE_0 src1_sel:DWORD
	v_mul_lo_u16_sdwa v30, v75, s6 dst_sel:DWORD dst_unused:UNUSED_PAD src0_sel:BYTE_0 src1_sel:DWORD
	v_lshrrev_b16_e32 v77, 9, v5
	v_lshrrev_b16_e32 v95, 9, v30
	v_mul_lo_u16_e32 v5, 3, v77
	v_mul_lo_u16_e32 v30, 3, v95
	v_sub_u16_e32 v94, v70, v5
	v_mov_b32_e32 v5, 5
	v_sub_u16_e32 v96, v75, v30
	v_mul_u32_u24_sdwa v19, v94, v5 dst_sel:DWORD dst_unused:UNUSED_PAD src0_sel:BYTE_0 src1_sel:DWORD
	v_mul_u32_u24_sdwa v30, v96, v5 dst_sel:DWORD dst_unused:UNUSED_PAD src0_sel:BYTE_0 src1_sel:DWORD
	v_lshlrev_b32_e32 v19, 3, v19
	v_lshlrev_b32_e32 v30, 3, v30
	global_load_dwordx4 v[42:45], v19, s[8:9]
	global_load_dwordx4 v[60:63], v19, s[8:9] offset:16
	global_load_dwordx4 v[64:67], v30, s[8:9]
	global_load_dwordx4 v[78:81], v30, s[8:9] offset:16
	global_load_dwordx2 v[48:49], v30, s[8:9] offset:32
	v_mul_lo_u16_sdwa v30, v72, s6 dst_sel:DWORD dst_unused:UNUSED_PAD src0_sel:BYTE_0 src1_sel:DWORD
	v_lshrrev_b16_e32 v30, 9, v30
	v_mul_lo_u16_e32 v32, 3, v30
	v_sub_u16_e32 v36, v72, v32
	v_mul_u32_u24_sdwa v5, v36, v5 dst_sel:DWORD dst_unused:UNUSED_PAD src0_sel:BYTE_0 src1_sel:DWORD
	global_load_dwordx2 v[68:69], v19, s[8:9] offset:32
	v_lshlrev_b32_e32 v5, 3, v5
	global_load_dwordx4 v[82:85], v5, s[8:9]
	global_load_dwordx4 v[86:89], v5, s[8:9] offset:16
	global_load_dwordx2 v[92:93], v5, s[8:9] offset:32
	v_mov_b32_e32 v90, v14
	s_waitcnt lgkmcnt(2)
	v_mov_b32_e32 v91, v13
	s_mov_b32 s6, 0x3f5db3d7
	s_mov_b32 s7, 0.5
	s_waitcnt lgkmcnt(0)
	; wave barrier
	s_waitcnt vmcnt(8) lgkmcnt(0)
	v_mul_f32_e32 v5, v27, v43
	v_mul_f32_e32 v32, v11, v43
	v_mul_f32_e32 v34, v29, v45
	v_mul_f32_e32 v19, v57, v45
	s_waitcnt vmcnt(7)
	v_mul_f32_e32 v39, v23, v63
	v_fma_f32 v38, v11, v42, -v5
	s_waitcnt vmcnt(6)
	v_mul_f32_e32 v5, v56, v65
	v_mul_f32_e32 v97, v25, v61
	;; [unrolled: 1-line block ×3, first 2 shown]
	v_fmac_f32_e32 v32, v27, v42
	v_fmac_f32_e32 v34, v57, v44
	v_fma_f32 v42, v29, v44, -v19
	v_mul_f32_e32 v19, v28, v65
	v_mul_f32_e32 v11, v54, v67
	v_fma_f32 v28, v28, v64, -v5
	s_waitcnt vmcnt(5)
	v_mul_f32_e32 v5, v50, v81
	v_fmac_f32_e32 v39, v53, v62
	v_mul_f32_e32 v43, v55, v61
	v_mul_f32_e32 v29, v24, v67
	;; [unrolled: 1-line block ×3, first 2 shown]
	v_fma_f32 v37, v24, v66, -v11
	s_waitcnt vmcnt(3)
	v_mul_f32_e32 v24, v21, v69
	v_mul_f32_e32 v11, v51, v69
	;; [unrolled: 1-line block ×3, first 2 shown]
	s_waitcnt vmcnt(2)
	v_mul_f32_e32 v63, v40, v85
	v_mul_f32_e32 v49, v35, v49
	v_fmac_f32_e32 v97, v55, v60
	v_fma_f32 v45, v23, v62, -v45
	v_fma_f32 v40, v20, v80, -v5
	v_add_f32_e32 v5, v34, v39
	v_fmac_f32_e32 v19, v56, v64
	v_mul_f32_e32 v33, v20, v81
	s_waitcnt vmcnt(1)
	v_mul_f32_e32 v64, v41, v89
	v_fma_f32 v41, v25, v60, -v43
	v_fma_f32 v25, v22, v78, -v44
	v_fmac_f32_e32 v24, v51, v68
	v_fma_f32 v44, v21, v68, -v11
	v_fma_f32 v21, v3, v48, -v49
	;; [unrolled: 1-line block ×3, first 2 shown]
	v_add_f32_e32 v3, v26, v34
	v_sub_f32_e32 v18, v42, v45
	v_add_f32_e32 v20, v32, v97
	v_fmac_f32_e32 v26, -0.5, v5
	v_add_f32_e32 v5, v20, v24
	v_fmamk_f32 v20, v18, 0xbf5db3d7, v26
	v_fmac_f32_e32 v26, 0x3f5db3d7, v18
	v_add_f32_e32 v18, v97, v24
	v_fmac_f32_e32 v32, -0.5, v18
	v_sub_f32_e32 v18, v41, v44
	v_fmac_f32_e32 v61, v35, v48
	v_fmamk_f32 v35, v18, 0xbf5db3d7, v32
	v_fmac_f32_e32 v32, 0x3f5db3d7, v18
	v_add_f32_e32 v18, v41, v44
	v_mov_b32_e32 v56, v85
	v_mov_b32_e32 v57, v89
	v_fma_f32 v48, -0.5, v18, v38
	v_sub_f32_e32 v18, v97, v24
	v_mul_f32_e32 v27, v22, v79
	v_fmac_f32_e32 v29, v54, v66
	v_mov_b32_e32 v54, v84
	v_mov_b32_e32 v55, v88
	v_fmac_f32_e32 v33, v50, v80
	v_pk_mul_f32 v[22:23], v[90:91], v[56:57]
	v_add_f32_e32 v3, v3, v39
	v_fmamk_f32 v49, v18, 0x3f5db3d7, v48
	v_pk_fma_f32 v[22:23], v[58:59], v[54:55], v[22:23]
	v_fmac_f32_e32 v48, 0xbf5db3d7, v18
	v_add_f32_e32 v56, v3, v5
	v_mul_f32_e32 v18, 0xbf5db3d7, v49
	v_sub_f32_e32 v59, v3, v5
	v_add_f32_e32 v5, v29, v33
	v_fmac_f32_e32 v27, v52, v78
	v_fmac_f32_e32 v18, 0.5, v35
	v_add_f32_e32 v3, v31, v29
	v_fmac_f32_e32 v31, -0.5, v5
	v_sub_f32_e32 v5, v37, v40
	v_add_f32_e32 v57, v20, v18
	v_sub_f32_e32 v60, v20, v18
	v_fmamk_f32 v18, v5, 0xbf5db3d7, v31
	v_fmac_f32_e32 v31, 0x3f5db3d7, v5
	v_add_f32_e32 v5, v19, v27
	v_add_f32_e32 v20, v5, v61
	;; [unrolled: 1-line block ×3, first 2 shown]
	v_fmac_f32_e32 v19, -0.5, v5
	v_sub_f32_e32 v5, v25, v21
	v_add_f32_e32 v3, v3, v33
	v_fmamk_f32 v50, v5, 0xbf5db3d7, v19
	v_fmac_f32_e32 v19, 0x3f5db3d7, v5
	v_add_f32_e32 v5, v25, v21
	v_fma_f32 v43, v13, v88, -v64
	v_mul_f32_e32 v24, 0xbf5db3d7, v48
	v_fma_f32 v51, -0.5, v5, v28
	v_sub_f32_e32 v5, v27, v61
	v_add_f32_e32 v61, v3, v20
	v_sub_f32_e32 v65, v3, v20
	v_add_f32_e32 v3, v22, v23
	v_fmac_f32_e32 v24, -0.5, v32
	v_fmac_f32_e32 v0, -0.5, v3
	v_sub_f32_e32 v3, v11, v43
	v_add_f32_e32 v58, v26, v24
	v_sub_f32_e32 v62, v26, v24
	v_pk_mul_f32 v[26:27], v[8:9], v[82:83] op_sel:[1,0]
	v_mov_b32_e32 v24, v23
	v_fmamk_f32 v23, v3, 0xbf5db3d7, v0
	v_fmac_f32_e32 v0, 0x3f5db3d7, v3
	v_pk_mul_f32 v[2:3], v[2:3], v[86:87] op_sel_hi:[0,1]
	v_fmamk_f32 v52, v5, 0x3f5db3d7, v51
	v_fmac_f32_e32 v51, 0xbf5db3d7, v5
	v_pk_fma_f32 v[54:55], v[4:5], v[82:83], v[26:27] op_sel:[0,0,1] op_sel_hi:[1,1,0]
	v_pk_fma_f32 v[4:5], v[4:5], v[82:83], v[26:27] op_sel:[0,0,1] op_sel_hi:[0,1,0] neg_lo:[1,0,0] neg_hi:[1,0,0]
	v_pk_fma_f32 v[26:27], v[12:13], v[86:87], v[2:3] op_sel:[0,0,1] op_sel_hi:[1,1,0] neg_lo:[0,0,1] neg_hi:[0,0,1]
	v_pk_fma_f32 v[2:3], v[12:13], v[86:87], v[2:3] op_sel:[0,0,1] op_sel_hi:[0,1,0]
	s_waitcnt vmcnt(0)
	v_pk_mul_f32 v[12:13], v[6:7], v[92:93] op_sel:[1,0]
	v_mov_b32_e32 v2, v26
	v_pk_fma_f32 v[26:27], v[14:15], v[92:93], v[12:13] op_sel:[1,0,1] op_sel_hi:[1,1,0] neg_lo:[0,0,1] neg_hi:[0,0,1]
	v_pk_fma_f32 v[12:13], v[14:15], v[92:93], v[12:13] op_sel:[1,0,1] op_sel_hi:[1,1,0]
	v_mul_f32_e32 v4, 0xbf5db3d7, v52
	v_mov_b32_e32 v12, v26
	v_fmac_f32_e32 v4, 0.5, v50
	v_pk_add_f32 v[14:15], v[2:3], v[12:13]
	v_add_f32_e32 v63, v18, v4
	v_sub_f32_e32 v66, v18, v4
	v_mov_b32_e32 v4, v54
	v_pk_mul_f32 v[14:15], v[14:15], 0.5 op_sel_hi:[1,0]
	v_mul_f32_e32 v9, 0xbf5db3d7, v51
	v_pk_add_f32 v[26:27], v[4:5], v[14:15] op_sel:[0,1] op_sel_hi:[1,0] neg_lo:[0,1] neg_hi:[0,1]
	v_pk_add_f32 v[54:55], v[2:3], v[12:13] neg_lo:[0,1] neg_hi:[0,1]
	v_fmac_f32_e32 v9, -0.5, v19
	v_pk_fma_f32 v[14:15], v[54:55], s[6:7], v[26:27] op_sel_hi:[1,0,1]
	v_pk_fma_f32 v[26:27], v[54:55], s[6:7], v[26:27] op_sel_hi:[1,0,1] neg_lo:[1,0,0] neg_hi:[1,0,0]
	v_mov_b32_e32 v54, 2
	v_add_f32_e32 v64, v31, v9
	v_sub_f32_e32 v67, v31, v9
	v_mul_f32_e32 v7, 0xbf5db3d7, v15
	v_mul_f32_e32 v53, 0xbf5db3d7, v27
	v_mul_u32_u24_e32 v9, 0x48, v77
	v_lshlrev_b32_sdwa v31, v54, v94 dst_sel:DWORD dst_unused:UNUSED_PAD src0_sel:DWORD src1_sel:BYTE_0
	v_fmac_f32_e32 v7, 0.5, v26
	v_fmac_f32_e32 v53, -0.5, v14
	v_add3_u32 v9, 0, v9, v31
	v_mul_u32_u24_e32 v31, 0x48, v95
	v_lshlrev_b32_sdwa v55, v54, v96 dst_sel:DWORD dst_unused:UNUSED_PAD src0_sel:DWORD src1_sel:BYTE_0
	v_sub_f32_e32 v18, v23, v7
	v_sub_f32_e32 v20, v0, v53
	v_add3_u32 v31, 0, v31, v55
	ds_write2_b32 v9, v56, v57 offset1:3
	ds_write2_b32 v9, v58, v59 offset0:6 offset1:9
	ds_write2_b32 v9, v60, v62 offset0:12 offset1:15
	ds_write2_b32 v31, v61, v63 offset1:3
	ds_write2_b32 v31, v64, v65 offset0:6 offset1:9
	ds_write2_b32 v31, v66, v67 offset0:12 offset1:15
	s_and_saveexec_b64 s[10:11], s[4:5]
	s_cbranch_execz .LBB0_29
; %bb.28:
	v_add_f32_e32 v3, v4, v3
	v_add_f32_e32 v4, v6, v22
	v_add_f32_e32 v3, v3, v13
	v_add_f32_e32 v4, v4, v24
	v_sub_f32_e32 v6, v4, v3
	v_add_f32_e32 v3, v4, v3
	v_mul_u32_u24_e32 v4, 0x48, v30
	v_lshlrev_b32_sdwa v13, v54, v36 dst_sel:DWORD dst_unused:UNUSED_PAD src0_sel:DWORD src1_sel:BYTE_0
	v_add_f32_e32 v7, v23, v7
	v_add3_u32 v4, 0, v4, v13
	v_add_f32_e32 v0, v0, v53
	ds_write2_b32 v4, v3, v7 offset1:3
	ds_write2_b32 v4, v0, v6 offset0:6 offset1:9
	ds_write2_b32 v4, v18, v20 offset0:12 offset1:15
.LBB0_29:
	s_or_b64 exec, exec, s[10:11]
	v_add_f32_e32 v3, v42, v45
	v_add_f32_e32 v0, v10, v42
	v_fmac_f32_e32 v10, -0.5, v3
	v_sub_f32_e32 v3, v34, v39
	v_mul_f32_e32 v6, 0.5, v49
	v_fmamk_f32 v4, v3, 0x3f5db3d7, v10
	v_fmac_f32_e32 v10, 0xbf5db3d7, v3
	v_add_f32_e32 v3, v38, v41
	v_fmac_f32_e32 v6, 0x3f5db3d7, v35
	v_add_f32_e32 v0, v0, v45
	v_add_f32_e32 v3, v3, v44
	;; [unrolled: 1-line block ×3, first 2 shown]
	v_sub_f32_e32 v54, v4, v6
	v_add_f32_e32 v4, v37, v40
	v_add_f32_e32 v13, v0, v3
	v_sub_f32_e32 v3, v0, v3
	v_add_f32_e32 v0, v1, v37
	v_fmac_f32_e32 v1, -0.5, v4
	v_sub_f32_e32 v4, v29, v33
	v_mul_f32_e32 v7, -0.5, v48
	v_fmamk_f32 v6, v4, 0x3f5db3d7, v1
	v_fmac_f32_e32 v1, 0xbf5db3d7, v4
	v_add_f32_e32 v4, v28, v25
	v_fmac_f32_e32 v7, 0x3f5db3d7, v32
	v_add_f32_e32 v0, v0, v40
	v_add_f32_e32 v4, v4, v21
	;; [unrolled: 1-line block ×3, first 2 shown]
	v_sub_f32_e32 v10, v10, v7
	v_add_f32_e32 v55, v0, v4
	v_mul_f32_e32 v7, 0.5, v52
	v_sub_f32_e32 v57, v0, v4
	v_add_f32_e32 v0, v11, v43
	v_fmac_f32_e32 v7, 0x3f5db3d7, v50
	v_mul_f32_e32 v21, -0.5, v51
	v_fma_f32 v4, -0.5, v0, v8
	v_sub_f32_e32 v0, v22, v24
	v_add_f32_e32 v52, v6, v7
	v_fmac_f32_e32 v21, 0x3f5db3d7, v19
	v_sub_f32_e32 v58, v6, v7
	v_mul_f32_e32 v6, 0x3f5db3d7, v0
	v_add_f32_e32 v56, v1, v21
	v_sub_f32_e32 v59, v1, v21
	v_pk_add_f32 v[0:1], v[4:5], v[6:7] neg_lo:[0,1] neg_hi:[0,1]
	v_pk_add_f32 v[6:7], v[4:5], v[6:7]
	v_pk_mul_f32 v[22:23], v[26:27], s[6:7]
	v_mov_b32_e32 v1, v6
	v_pk_fma_f32 v[6:7], v[14:15], s[6:7], v[22:23] op_sel:[0,0,1] op_sel_hi:[1,1,0] neg_lo:[0,0,1] neg_hi:[0,0,1]
	v_pk_fma_f32 v[14:15], v[14:15], s[6:7], v[22:23] op_sel:[0,0,1] op_sel_hi:[1,1,0]
	v_lshl_add_u32 v48, v72, 2, 0
	v_mov_b32_e32 v7, v15
	s_waitcnt lgkmcnt(0)
	; wave barrier
	s_waitcnt lgkmcnt(0)
	v_lshl_add_u32 v15, v73, 2, 0
	ds_read_b32 v42, v48
	ds_read_b32 v37, v15
	v_lshl_add_u32 v21, v74, 2, 0
	v_lshl_add_u32 v19, v70, 2, 0
	ds_read_b32 v26, v76
	ds_read_b32 v41, v19 offset:1080
	ds_read_b32 v44, v47
	ds_read_b32 v40, v21
	v_add_u32_e32 v49, 0x400, v76
	v_add_u32_e32 v51, 0x800, v76
	;; [unrolled: 1-line block ×3, first 2 shown]
	ds_read2_b32 v[38:39], v49 offset0:68 offset1:122
	ds_read2_b32 v[24:25], v49 offset0:176 offset1:230
	;; [unrolled: 1-line block ×5, first 2 shown]
	v_pk_add_f32 v[22:23], v[0:1], v[6:7] neg_lo:[0,1] neg_hi:[0,1]
	s_waitcnt lgkmcnt(0)
	; wave barrier
	s_waitcnt lgkmcnt(0)
	ds_write2_b32 v9, v13, v45 offset1:3
	ds_write2_b32 v9, v53, v3 offset0:6 offset1:9
	ds_write2_b32 v9, v54, v10 offset0:12 offset1:15
	ds_write2_b32 v31, v55, v52 offset1:3
	ds_write2_b32 v31, v56, v57 offset0:6 offset1:9
	ds_write2_b32 v31, v58, v59 offset0:12 offset1:15
	s_and_saveexec_b64 s[6:7], s[4:5]
	s_cbranch_execz .LBB0_31
; %bb.30:
	v_add_f32_e32 v3, v8, v11
	v_add_f32_e32 v2, v5, v2
	;; [unrolled: 1-line block ×4, first 2 shown]
	v_mov_b32_e32 v5, 2
	v_add_f32_e32 v4, v3, v2
	v_sub_f32_e32 v2, v3, v2
	v_mul_u32_u24_e32 v3, 0x48, v30
	v_lshlrev_b32_sdwa v5, v5, v36 dst_sel:DWORD dst_unused:UNUSED_PAD src0_sel:DWORD src1_sel:BYTE_0
	v_pk_add_f32 v[0:1], v[0:1], v[6:7]
	v_add3_u32 v3, 0, v3, v5
	ds_write2_b32 v3, v4, v1 offset1:3
	ds_write2_b32 v3, v0, v2 offset0:6 offset1:9
	ds_write2_b32 v3, v23, v22 offset0:12 offset1:15
.LBB0_31:
	s_or_b64 exec, exec, s[6:7]
	v_mov_b32_e32 v0, 57
	v_mul_lo_u16_sdwa v0, v70, v0 dst_sel:DWORD dst_unused:UNUSED_PAD src0_sel:BYTE_0 src1_sel:DWORD
	v_lshrrev_b16_e32 v69, 10, v0
	v_mul_lo_u16_e32 v0, 18, v69
	v_sub_u16_e32 v77, v70, v0
	v_mov_b32_e32 v0, 15
	v_mul_u32_u24_sdwa v0, v77, v0 dst_sel:DWORD dst_unused:UNUSED_PAD src0_sel:BYTE_0 src1_sel:DWORD
	v_lshlrev_b32_e32 v27, 3, v0
	s_waitcnt lgkmcnt(0)
	; wave barrier
	s_waitcnt lgkmcnt(0)
	global_load_dwordx4 v[54:57], v27, s[8:9] offset:120
	global_load_dwordx4 v[58:61], v27, s[8:9] offset:136
	;; [unrolled: 1-line block ×3, first 2 shown]
	global_load_dwordx3 v[12:14], v27, s[8:9] offset:168
	global_load_dwordx4 v[0:3], v27, s[8:9] offset:180
	global_load_dwordx4 v[4:7], v27, s[8:9] offset:212
	;; [unrolled: 1-line block ×3, first 2 shown]
	ds_read_b32 v36, v48
	ds_read_b32 v43, v15
	;; [unrolled: 1-line block ×5, first 2 shown]
	ds_read_b32 v79, v19 offset:1080
	ds_read2_b32 v[80:81], v49 offset0:68 offset1:122
	ds_read2_b32 v[30:31], v49 offset0:176 offset1:230
	;; [unrolled: 1-line block ×4, first 2 shown]
	global_load_dwordx3 v[66:68], v27, s[8:9] offset:228
	s_waitcnt lgkmcnt(8)
	v_mov_b32_e32 v99, v43
	v_mov_b32_e32 v84, v38
	s_waitcnt lgkmcnt(3)
	v_mov_b32_e32 v85, v81
	v_mov_b32_e32 v83, v39
	;; [unrolled: 1-line block ×3, first 2 shown]
	ds_read2_b32 v[90:91], v50 offset0:116 offset1:170
	v_mov_b32_e32 v96, v34
	s_waitcnt lgkmcnt(2)
	v_mov_b32_e32 v97, v87
	v_mov_b32_e32 v95, v35
	;; [unrolled: 1-line block ×6, first 2 shown]
	s_mov_b32 s4, 0x3f3504f3
	s_waitcnt lgkmcnt(0)
	; wave barrier
	s_waitcnt vmcnt(7) lgkmcnt(0)
	v_mul_f32_e32 v27, v45, v55
	v_mul_f32_e32 v53, v44, v55
	v_fmac_f32_e32 v27, v44, v54
	v_fma_f32 v53, v45, v54, -v53
	v_mov_b32_e32 v54, v56
	s_waitcnt vmcnt(6)
	v_mov_b32_e32 v55, v59
	v_mov_b32_e32 v101, v58
	v_mov_b32_e32 v45, v58
	v_mov_b32_e32 v58, v57
	v_pk_mul_f32 v[54:55], v[42:43], v[54:55]
	v_mov_b32_e32 v43, v37
	v_mul_f32_e32 v102, v78, v61
	s_waitcnt vmcnt(5)
	v_mul_f32_e32 v103, v79, v63
	v_pk_mul_f32 v[42:43], v[42:43], v[58:59]
	s_waitcnt vmcnt(4)
	v_mov_b32_e32 v59, v12
	v_mov_b32_e32 v12, v64
	;; [unrolled: 1-line block ×6, first 2 shown]
	v_fmac_f32_e32 v102, v40, v60
	v_fmac_f32_e32 v103, v41, v62
	v_mov_b32_e32 v62, v61
	v_mov_b32_e32 v58, v65
	v_pk_mul_f32 v[60:61], v[84:85], v[12:13]
	v_mov_b32_e32 v12, v65
	v_pk_fma_f32 v[60:61], v[82:83], v[58:59], v[60:61]
	v_pk_mul_f32 v[40:41], v[40:41], v[62:63]
	v_mov_b32_e32 v58, v64
	s_waitcnt vmcnt(3)
	v_mov_b32_e32 v64, v3
	s_waitcnt vmcnt(1)
	v_mov_b32_e32 v65, v10
	v_pk_mul_f32 v[12:13], v[38:39], v[12:13]
	v_pk_fma_f32 v[38:39], v[78:79], v[56:57], v[40:41] neg_lo:[0,0,1] neg_hi:[0,0,1]
	v_pk_mul_f32 v[40:41], v[96:97], v[64:65]
	v_mul_f32_e32 v104, v25, v2
	v_mov_b32_e32 v63, v2
	v_pk_fma_f32 v[40:41], v[94:95], v[8:9], v[40:41]
	v_mov_b32_e32 v2, v3
	v_mov_b32_e32 v3, v9
	;; [unrolled: 1-line block ×3, first 2 shown]
	v_mul_f32_e32 v82, v89, v6
	v_pk_mul_f32 v[8:9], v[34:35], v[8:9]
	v_mul_f32_e32 v105, v88, v4
	v_fmac_f32_e32 v82, v33, v5
	v_pk_fma_f32 v[2:3], v[86:87], v[2:3], v[8:9] neg_lo:[0,0,1] neg_hi:[0,0,1]
	v_mov_b32_e32 v9, v5
	v_mov_b32_e32 v5, v6
	v_fmac_f32_e32 v105, v32, v11
	v_mov_b32_e32 v8, v11
	v_pk_mul_f32 v[4:5], v[32:33], v[4:5]
	v_mov_b32_e32 v10, v28
	v_mov_b32_e32 v11, v91
	;; [unrolled: 1-line block ×3, first 2 shown]
	s_waitcnt vmcnt(0)
	v_mov_b32_e32 v33, v68
	v_pk_fma_f32 v[4:5], v[88:89], v[8:9], v[4:5] neg_lo:[0,0,1] neg_hi:[0,0,1]
	v_mov_b32_e32 v8, v90
	v_mov_b32_e32 v9, v29
	v_pk_mul_f32 v[10:11], v[10:11], v[32:33]
	v_mov_b32_e32 v25, v31
	v_mov_b32_e32 v62, v14
	v_pk_fma_f32 v[8:9], v[8:9], v[66:67], v[10:11]
	v_mov_b32_e32 v6, v7
	v_mov_b32_e32 v7, v67
	;; [unrolled: 1-line block ×3, first 2 shown]
	v_pk_mul_f32 v[62:63], v[24:25], v[62:63]
	v_pk_mul_f32 v[10:11], v[28:29], v[66:67]
	v_pk_fma_f32 v[36:37], v[36:37], v[100:101], v[54:55]
	v_pk_fma_f32 v[54:55], v[92:93], v[0:1], v[62:63]
	v_pk_fma_f32 v[42:43], v[98:99], v[44:45], v[42:43] neg_lo:[0,0,1] neg_hi:[0,0,1]
	v_pk_fma_f32 v[12:13], v[80:81], v[58:59], v[12:13] neg_lo:[0,0,1] neg_hi:[0,0,1]
	;; [unrolled: 1-line block ×3, first 2 shown]
	v_fma_f32 v31, v31, v1, -v104
	v_sub_f32_e32 v82, v103, v82
	v_pk_add_f32 v[28:29], v[26:27], v[54:55] neg_lo:[0,1] neg_hi:[0,1]
	v_pk_add_f32 v[34:35], v[38:39], v[4:5] neg_lo:[0,1] neg_hi:[0,1]
	;; [unrolled: 1-line block ×6, first 2 shown]
	v_fma_f32 v45, v103, 2.0, -v82
	v_fma_f32 v10, v26, 2.0, -v28
	;; [unrolled: 1-line block ×6, first 2 shown]
	v_sub_f32_e32 v31, v53, v31
	v_fma_f32 v36, v27, 2.0, -v29
	v_fma_f32 v41, v43, 2.0, -v33
	;; [unrolled: 1-line block ×4, first 2 shown]
	v_pk_add_f32 v[12:13], v[28:29], v[34:35]
	v_pk_add_f32 v[6:7], v[4:5], v[6:7]
	v_pk_add_f32 v[8:9], v[32:33], v[8:9] neg_lo:[0,1] neg_hi:[0,1]
	v_sub_f32_e32 v25, v102, v105
	v_fma_f32 v40, v53, 2.0, -v31
	v_fma_f32 v39, v39, 2.0, -v35
	;; [unrolled: 1-line block ×4, first 2 shown]
	v_sub_f32_e32 v27, v1, v26
	v_fma_f32 v4, v4, 2.0, -v6
	v_fma_f32 v26, v32, 2.0, -v8
	v_sub_f32_e32 v32, v36, v45
	v_fma_f32 v44, v102, 2.0, -v25
	v_sub_f32_e32 v3, v11, v2
	v_sub_f32_e32 v57, v40, v39
	v_fma_f32 v35, v36, 2.0, -v32
	v_sub_f32_e32 v36, v31, v82
	v_sub_f32_e32 v58, v37, v42
	v_sub_f32_e32 v59, v41, v43
	v_fmamk_f32 v60, v4, 0xbf3504f3, v28
	v_sub_f32_e32 v44, v10, v44
	v_fma_f32 v2, v11, 2.0, -v3
	v_fma_f32 v11, v40, 2.0, -v57
	;; [unrolled: 1-line block ×7, first 2 shown]
	v_fmac_f32_e32 v60, 0x3f3504f3, v26
	v_fma_f32 v55, v33, 2.0, -v9
	v_mul_f32_e32 v53, 0x3f3504f3, v26
	v_fma_f32 v26, v28, 2.0, -v60
	v_add_f32_e32 v28, v44, v27
	v_sub_f32_e32 v33, v35, v31
	v_fmamk_f32 v31, v41, 0xbf3504f3, v29
	v_fma_f32 v10, v10, 2.0, -v44
	v_mul_f32_e32 v39, 0x3f3504f3, v4
	v_fma_f32 v61, v44, 2.0, -v28
	v_pk_mul_f32 v[44:45], v[6:7], s[4:5] op_sel_hi:[1,0]
	v_pk_fma_f32 v[4:5], v[6:7], s[4:5], v[12:13] op_sel_hi:[1,0,1]
	v_fma_f32 v7, v35, 2.0, -v33
	v_fmamk_f32 v35, v55, 0xbf3504f3, v40
	v_fmac_f32_e32 v31, 0x3f3504f3, v55
	v_sub_f32_e32 v2, v10, v2
	v_pk_mul_f32 v[42:43], v[8:9], s[4:5] op_sel_hi:[1,0]
	v_fmac_f32_e32 v35, 0xbf3504f3, v41
	v_fma_f32 v55, v29, 2.0, -v31
	v_fma_f32 v10, v10, 2.0, -v2
	v_pk_fma_f32 v[4:5], v[8:9], s[4:5], v[4:5] op_sel_hi:[1,0,1]
	v_sub_f32_e32 v54, v11, v37
	v_fma_f32 v56, v40, 2.0, -v35
	v_add_f32_e32 v62, v32, v59
	v_sub_f32_e32 v63, v57, v58
	v_add_f32_e32 v8, v36, v43
	v_fmamk_f32 v9, v55, 0xbf6c835e, v26
	v_fma_f32 v6, v12, 2.0, -v4
	v_fma_f32 v64, v32, 2.0, -v62
	;; [unrolled: 1-line block ×3, first 2 shown]
	v_sub_f32_e32 v41, v8, v45
	v_fma_f32 v43, v13, 2.0, -v5
	v_sub_f32_e32 v7, v10, v7
	v_fmac_f32_e32 v9, 0x3ec3ef15, v56
	v_add_f32_e32 v29, v2, v54
	v_mul_u32_u24_e32 v57, 0x120, v69
	v_fma_f32 v45, v36, 2.0, -v41
	v_fma_f32 v8, v10, 2.0, -v7
	;; [unrolled: 1-line block ×3, first 2 shown]
	v_fmamk_f32 v12, v64, 0xbf3504f3, v61
	v_fmamk_f32 v26, v43, 0xbec3ef15, v6
	v_fma_f32 v32, v2, 2.0, -v29
	v_fmamk_f32 v36, v31, 0x3ec3ef15, v60
	v_fmamk_f32 v40, v62, 0x3f3504f3, v28
	;; [unrolled: 1-line block ×3, first 2 shown]
	v_or_b32_sdwa v57, v57, v77 dst_sel:DWORD dst_unused:UNUSED_PAD src0_sel:DWORD src1_sel:BYTE_0
	v_fmac_f32_e32 v12, 0x3f3504f3, v65
	v_fmac_f32_e32 v26, 0x3f6c835e, v45
	;; [unrolled: 1-line block ×5, first 2 shown]
	v_lshl_add_u32 v57, v57, 2, 0
	v_fma_f32 v13, v61, 2.0, -v12
	v_fma_f32 v6, v6, 2.0, -v26
	;; [unrolled: 1-line block ×5, first 2 shown]
	v_add_u32_e32 v58, 0x200, v57
	v_add_u32_e32 v59, 0x600, v76
	ds_write2_b32 v57, v8, v10 offset1:18
	ds_write2_b32 v57, v13, v6 offset0:36 offset1:54
	ds_write2_b32 v57, v32, v37 offset0:72 offset1:90
	;; [unrolled: 1-line block ×7, first 2 shown]
	s_waitcnt lgkmcnt(0)
	; wave barrier
	s_waitcnt lgkmcnt(0)
	ds_read2_b32 v[36:37], v49 offset0:32 offset1:86
	ds_read2_b32 v[6:7], v59 offset0:120 offset1:192
	;; [unrolled: 1-line block ×4, first 2 shown]
	ds_read_b32 v26, v48
	ds_read_b32 v10, v15
	ds_read2_b32 v[8:9], v50 offset0:98 offset1:152
	ds_read_b32 v40, v76
	ds_read_b32 v32, v47
	;; [unrolled: 1-line block ×3, first 2 shown]
	v_mul_f32_e32 v51, 0x3f3504f3, v64
	v_mul_f32_e32 v60, 0x3f3504f3, v65
	;; [unrolled: 1-line block ×4, first 2 shown]
	s_and_saveexec_b64 s[4:5], s[0:1]
	s_cbranch_execz .LBB0_33
; %bb.32:
	ds_read_b32 v2, v19 offset:1080
	ds_read_b32 v18, v76 offset:2232
	ds_read_b32 v20, v76 offset:3384
.LBB0_33:
	s_or_b64 exec, exec, s[4:5]
	v_mul_f32_e32 v0, v24, v0
	v_fma_f32 v0, v30, v14, -v0
	v_sub_f32_e32 v0, v52, v0
	v_sub_f32_e32 v25, v0, v25
	v_fma_f32 v14, v52, 2.0, -v0
	v_fma_f32 v0, v0, 2.0, -v25
	;; [unrolled: 1-line block ×4, first 2 shown]
	v_sub_f32_e32 v27, v0, v53
	v_sub_f32_e32 v24, v14, v24
	;; [unrolled: 1-line block ×4, first 2 shown]
	v_fmamk_f32 v35, v35, 0x3ec3ef15, v27
	v_fma_f32 v14, v14, 2.0, -v24
	v_add_f32_e32 v30, v25, v42
	v_fmac_f32_e32 v35, 0xbf6c835e, v31
	v_add_f32_e32 v31, v3, v50
	v_sub_f32_e32 v1, v14, v1
	v_fma_f32 v0, v0, 2.0, -v27
	v_sub_f32_e32 v30, v30, v44
	v_sub_f32_e32 v31, v31, v49
	v_fma_f32 v14, v14, 2.0, -v1
	v_fma_f32 v24, v24, 2.0, -v3
	;; [unrolled: 1-line block ×4, first 2 shown]
	v_fmamk_f32 v34, v56, 0xbf6c835e, v0
	v_fma_f32 v42, v3, 2.0, -v31
	v_fmamk_f32 v3, v41, 0x3f6c835e, v30
	v_sub_f32_e32 v11, v14, v11
	v_fmac_f32_e32 v34, 0xbec3ef15, v55
	v_sub_f32_e32 v38, v24, v60
	v_fmamk_f32 v39, v45, 0xbec3ef15, v25
	v_fmac_f32_e32 v3, 0xbec3ef15, v5
	v_fma_f32 v14, v14, 2.0, -v11
	v_fma_f32 v0, v0, 2.0, -v34
	v_sub_f32_e32 v38, v38, v51
	v_fmac_f32_e32 v39, 0xbf6c835e, v43
	v_sub_f32_e32 v33, v1, v33
	v_fma_f32 v5, v30, 2.0, -v3
	v_fma_f32 v24, v24, 2.0, -v38
	;; [unrolled: 1-line block ×5, first 2 shown]
	s_waitcnt lgkmcnt(0)
	; wave barrier
	s_waitcnt lgkmcnt(0)
	ds_write2_b32 v57, v14, v0 offset1:18
	ds_write2_b32 v57, v24, v25 offset0:36 offset1:54
	ds_write2_b32 v57, v1, v27 offset0:72 offset1:90
	;; [unrolled: 1-line block ×7, first 2 shown]
	v_add_u32_e32 v5, 0x400, v76
	v_add_u32_e32 v11, 0x800, v76
	s_waitcnt lgkmcnt(0)
	; wave barrier
	s_waitcnt lgkmcnt(0)
	ds_read2_b32 v[44:45], v5 offset0:32 offset1:86
	ds_read2_b32 v[0:1], v59 offset0:120 offset1:192
	;; [unrolled: 1-line block ×4, first 2 shown]
	ds_read_b32 v27, v48
	ds_read_b32 v11, v15
	v_add_u32_e32 v5, 0xa00, v76
	ds_read2_b32 v[14:15], v5 offset0:98 offset1:152
	ds_read_b32 v41, v76
	ds_read_b32 v33, v47
	;; [unrolled: 1-line block ×3, first 2 shown]
	s_and_saveexec_b64 s[4:5], s[2:3]
	s_xor_b64 s[2:3], exec, s[4:5]
	s_cbranch_execnz .LBB0_37
; %bb.34:
	s_andn2_saveexec_b64 s[2:3], s[2:3]
	s_cbranch_execnz .LBB0_38
.LBB0_35:
	s_or_b64 exec, exec, s[2:3]
	s_and_saveexec_b64 s[2:3], vcc
	s_cbranch_execnz .LBB0_39
.LBB0_36:
	s_endpgm
.LBB0_37:
                                        ; implicit-def: $vgpr19
                                        ; implicit-def: $vgpr76
	s_andn2_saveexec_b64 s[2:3], s[2:3]
	s_cbranch_execz .LBB0_35
.LBB0_38:
	ds_read_b32 v3, v19 offset:1080
	ds_read_b32 v23, v76 offset:2232
	ds_read_b32 v22, v76 offset:3384
	s_or_b64 exec, exec, s[2:3]
	s_and_saveexec_b64 s[2:3], vcc
	s_cbranch_execz .LBB0_36
.LBB0_39:
	v_lshlrev_b32_e32 v24, 1, v74
	v_mov_b32_e32 v25, 0
	v_lshl_add_u64 v[34:35], v[24:25], 3, s[8:9]
	v_lshlrev_b32_e32 v24, 1, v73
	v_lshl_add_u64 v[42:43], v[24:25], 3, s[8:9]
	v_lshlrev_b32_e32 v24, 1, v72
	;; [unrolled: 2-line block ×4, first 2 shown]
	v_lshl_add_u64 v[60:61], v[24:25], 3, s[8:9]
	global_load_dwordx4 v[48:51], v[58:59], off offset:2280
	global_load_dwordx4 v[52:55], v[60:61], off offset:2280
	v_mad_u64_u32 v[60:61], s[2:3], s12, v70, 0
	v_mov_b32_e32 v58, v61
	v_mad_u64_u32 v[58:59], s[4:5], s13, v70, v[58:59]
	v_mov_b32_e32 v61, v58
	global_load_dwordx4 v[56:59], v[56:57], off offset:2280
	s_waitcnt lgkmcnt(8)
	v_mov_b32_e32 v24, v1
	v_mov_b32_e32 v62, v7
	v_mov_b32_e32 v64, v7
	v_mad_u64_u32 v[66:67], s[4:5], s12, v71, 0
	v_add_u32_e32 v1, 0x156, v70
	v_add_u32_e32 v7, 0x276, v70
	v_mov_b32_e32 v80, v67
	v_mad_u64_u32 v[82:83], s[4:5], s12, v1, 0
	v_mad_u64_u32 v[84:85], s[4:5], s12, v7, 0
	;; [unrolled: 1-line block ×3, first 2 shown]
	v_mov_b32_e32 v90, v83
	v_mov_b32_e32 v92, v85
	;; [unrolled: 1-line block ×3, first 2 shown]
	v_mad_u64_u32 v[80:81], s[4:5], s13, v1, v[90:91]
	v_mad_u64_u32 v[90:91], s[4:5], s13, v7, v[92:93]
	v_mov_b32_e32 v68, v45
	v_mov_b32_e32 v83, v80
	;; [unrolled: 1-line block ×5, first 2 shown]
	v_lshl_add_u64 v[80:81], v[82:83], 3, v[16:17]
	v_lshl_add_u64 v[82:83], v[84:85], 3, v[16:17]
	v_add_u32_e32 v19, 0x120, v70
	v_or_b32_e32 v21, 0x240, v70
	v_mad_u64_u32 v[76:77], s[4:5], s12, v19, 0
	s_movk_i32 s3, 0x240
	s_mov_b32 s2, 0x3f5db3d7
	v_mad_u64_u32 v[78:79], s[4:5], s12, v21, 0
	v_mov_b32_e32 v86, v77
	v_mov_b32_e32 v88, v79
	v_mad_u64_u32 v[86:87], s[4:5], s13, v19, v[86:87]
	v_mad_u64_u32 v[88:89], s[4:5], s13, v21, v[88:89]
	v_mov_b32_e32 v77, v86
	v_lshl_add_u64 v[60:61], v[60:61], 3, v[16:17]
	v_mov_b32_e32 v79, v88
	v_lshl_add_u64 v[76:77], v[76:77], 3, v[16:17]
	v_lshl_add_u64 v[78:79], v[78:79], 3, v[16:17]
	;; [unrolled: 1-line block ×3, first 2 shown]
	v_add_u32_e32 v1, 0x6c, v70
	s_waitcnt vmcnt(2)
	v_pk_mul_f32 v[68:69], v[68:69], v[48:49] op_sel_hi:[0,1]
	s_waitcnt vmcnt(1)
	v_pk_mul_f32 v[44:45], v[44:45], v[52:53] op_sel_hi:[0,1]
	v_pk_mul_f32 v[84:85], v[24:25], v[54:55] op_sel_hi:[0,1]
	v_pk_fma_f32 v[72:73], v[72:73], v[48:49], v[68:69] op_sel:[0,0,1] op_sel_hi:[1,1,0]
	v_pk_fma_f32 v[48:49], v[74:75], v[48:49], v[68:69] op_sel:[0,0,1] op_sel_hi:[0,1,0] neg_lo:[1,0,0] neg_hi:[1,0,0]
	v_pk_fma_f32 v[68:69], v[36:37], v[52:53], v[44:45] op_sel:[0,0,1] op_sel_hi:[1,1,0]
	v_pk_fma_f32 v[36:37], v[36:37], v[52:53], v[44:45] op_sel:[0,0,1] op_sel_hi:[0,1,0] neg_lo:[1,0,0] neg_hi:[1,0,0]
	;; [unrolled: 2-line block ×3, first 2 shown]
	v_mov_b32_e32 v69, v37
	v_mov_b32_e32 v45, v53
	v_mov_b32_e32 v73, v49
	v_pk_add_f32 v[36:37], v[68:69], v[44:45]
	v_pk_add_f32 v[48:49], v[68:69], v[44:45] neg_lo:[0,1] neg_hi:[0,1]
	s_waitcnt lgkmcnt(2)
	v_pk_add_f32 v[52:53], v[40:41], v[68:69]
	v_pk_fma_f32 v[36:37], v[36:37], 0.5, v[40:41] op_sel_hi:[1,0,1] neg_lo:[1,0,0] neg_hi:[1,0,0]
	v_pk_mul_f32 v[40:41], v[48:49], s[2:3] op_sel_hi:[1,0]
	v_pk_add_f32 v[44:45], v[52:53], v[44:45]
	v_pk_add_f32 v[48:49], v[36:37], v[40:41] op_sel:[0,1] op_sel_hi:[1,0]
	v_pk_add_f32 v[36:37], v[36:37], v[40:41] op_sel:[0,1] op_sel_hi:[1,0] neg_lo:[0,1] neg_hi:[0,1]
	v_mov_b32_e32 v41, v49
	v_mov_b32_e32 v40, v36
	;; [unrolled: 1-line block ×3, first 2 shown]
	v_pk_mul_f32 v[36:37], v[38:39], v[50:51] op_sel_hi:[0,1]
	global_store_dwordx2 v[60:61], v[44:45], off
	global_store_dwordx2 v[76:77], v[40:41], off
	;; [unrolled: 1-line block ×3, first 2 shown]
	v_pk_fma_f32 v[40:41], v[28:29], v[50:51], v[36:37] op_sel:[0,0,1] op_sel_hi:[1,1,0]
	v_pk_fma_f32 v[36:37], v[28:29], v[50:51], v[36:37] op_sel:[0,0,1] op_sel_hi:[0,1,0] neg_lo:[1,0,0] neg_hi:[1,0,0]
	v_mov_b32_e32 v41, v37
	v_pk_add_f32 v[36:37], v[72:73], v[40:41]
	v_pk_add_f32 v[44:45], v[72:73], v[40:41] neg_lo:[0,1] neg_hi:[0,1]
	s_waitcnt lgkmcnt(1)
	v_pk_fma_f32 v[36:37], v[36:37], 0.5, v[32:33] op_sel_hi:[1,0,1] neg_lo:[1,0,0] neg_hi:[1,0,0]
	v_pk_mul_f32 v[44:45], v[44:45], s[2:3] op_sel_hi:[1,0]
	v_pk_add_f32 v[32:33], v[32:33], v[72:73]
	v_pk_add_f32 v[48:49], v[36:37], v[44:45] op_sel:[0,1] op_sel_hi:[1,0]
	v_pk_add_f32 v[36:37], v[36:37], v[44:45] op_sel:[0,1] op_sel_hi:[1,0] neg_lo:[0,1] neg_hi:[0,1]
	v_pk_add_f32 v[32:33], v[32:33], v[40:41]
	global_store_dwordx2 v[66:67], v[32:33], off
	v_mov_b32_e32 v32, v36
	v_mov_b32_e32 v33, v49
	global_store_dwordx2 v[80:81], v[32:33], off
	v_mad_u64_u32 v[32:33], s[4:5], s12, v1, 0
	global_load_dwordx4 v[40:43], v[42:43], off offset:2280
	v_mov_b32_e32 v24, v33
	v_mov_b32_e32 v49, v37
	v_mad_u64_u32 v[36:37], s[4:5], s13, v1, v[24:25]
	v_add_u32_e32 v1, 0x18c, v70
	v_mov_b32_e32 v33, v36
	v_mad_u64_u32 v[36:37], s[4:5], s12, v1, 0
	v_mov_b32_e32 v24, v37
	v_mad_u64_u32 v[44:45], s[4:5], s13, v1, v[24:25]
	v_add_u32_e32 v1, 0x2ac, v70
	v_mov_b32_e32 v37, v44
	v_mad_u64_u32 v[44:45], s[4:5], s12, v1, 0
	v_mov_b32_e32 v24, v45
	global_store_dwordx2 v[82:83], v[48:49], off
	v_mad_u64_u32 v[48:49], s[4:5], s13, v1, v[24:25]
	v_mov_b32_e32 v45, v48
	s_waitcnt vmcnt(7)
	v_pk_mul_f32 v[48:49], v[30:31], v[56:57] op_sel_hi:[0,1]
	v_pk_fma_f32 v[50:51], v[12:13], v[56:57], v[48:49] op_sel:[0,0,1] op_sel_hi:[1,1,0]
	v_pk_fma_f32 v[48:49], v[12:13], v[56:57], v[48:49] op_sel:[0,0,1] op_sel_hi:[0,1,0] neg_lo:[1,0,0] neg_hi:[1,0,0]
	v_mov_b32_e32 v12, v39
	v_pk_mul_f32 v[38:39], v[12:13], v[58:59] op_sel_hi:[0,1]
	v_mov_b32_e32 v12, v29
	v_mov_b32_e32 v51, v49
	v_pk_fma_f32 v[48:49], v[12:13], v[58:59], v[38:39] op_sel:[0,0,1] op_sel_hi:[1,1,0]
	v_pk_fma_f32 v[28:29], v[12:13], v[58:59], v[38:39] op_sel:[0,0,1] op_sel_hi:[0,1,0] neg_lo:[1,0,0] neg_hi:[1,0,0]
	v_mov_b32_e32 v49, v29
	v_pk_add_f32 v[28:29], v[50:51], v[48:49]
	v_pk_add_f32 v[38:39], v[50:51], v[48:49] neg_lo:[0,1] neg_hi:[0,1]
	v_pk_fma_f32 v[28:29], v[28:29], 0.5, v[26:27] op_sel_hi:[1,0,1] neg_lo:[1,0,0] neg_hi:[1,0,0]
	v_pk_mul_f32 v[38:39], v[38:39], s[2:3] op_sel_hi:[1,0]
	v_pk_add_f32 v[26:27], v[26:27], v[50:51]
	v_lshl_add_u64 v[32:33], v[32:33], 3, v[16:17]
	v_pk_add_f32 v[52:53], v[28:29], v[38:39] op_sel:[0,1] op_sel_hi:[1,0]
	v_pk_add_f32 v[38:39], v[28:29], v[38:39] op_sel:[0,1] op_sel_hi:[1,0] neg_lo:[0,1] neg_hi:[0,1]
	v_pk_add_f32 v[26:27], v[26:27], v[48:49]
	v_lshl_add_u64 v[36:37], v[36:37], 3, v[16:17]
	global_store_dwordx2 v[32:33], v[26:27], off
	v_mov_b32_e32 v26, v38
	v_mov_b32_e32 v27, v53
	global_store_dwordx2 v[36:37], v[26:27], off
	global_load_dwordx4 v[26:29], v[34:35], off offset:2280
	v_add_u32_e32 v1, 0xa2, v70
	v_mad_u64_u32 v[32:33], s[4:5], s12, v1, 0
	v_mov_b32_e32 v12, v33
	v_mad_u64_u32 v[34:35], s[4:5], s13, v1, v[12:13]
	v_add_u32_e32 v1, 0x1c2, v70
	v_mov_b32_e32 v33, v34
	v_mad_u64_u32 v[34:35], s[4:5], s12, v1, 0
	v_mov_b32_e32 v12, v35
	v_mad_u64_u32 v[36:37], s[4:5], s13, v1, v[12:13]
	v_add_u32_e32 v1, 0x2e2, v70
	v_mov_b32_e32 v35, v36
	v_mad_u64_u32 v[36:37], s[4:5], s12, v1, 0
	v_mov_b32_e32 v12, v37
	v_mov_b32_e32 v53, v39
	v_mad_u64_u32 v[38:39], s[4:5], s13, v1, v[12:13]
	v_mov_b32_e32 v12, v31
	v_mov_b32_e32 v37, v38
	v_add_u32_e32 v1, 0xd8, v70
	s_mov_b32 s4, 0x38e38e39
	v_mul_hi_u32 v7, v1, s4
	v_lshl_add_u64 v[44:45], v[44:45], 3, v[16:17]
	v_lshl_add_u64 v[32:33], v[32:33], 3, v[16:17]
	v_lshrrev_b32_e32 v7, 6, v7
	global_store_dwordx2 v[44:45], v[52:53], off
	v_lshl_add_u64 v[34:35], v[34:35], 3, v[16:17]
	v_mad_u32_u24 v1, v7, s3, v1
	v_add_u32_e32 v7, 0x120, v1
	v_lshl_add_u64 v[36:37], v[36:37], 3, v[16:17]
	s_waitcnt vmcnt(5)
	v_pk_mul_f32 v[30:31], v[12:13], v[40:41] op_sel_hi:[0,1]
	v_mov_b32_e32 v12, v13
	v_pk_fma_f32 v[38:39], v[12:13], v[40:41], v[30:31] op_sel:[0,0,1] op_sel_hi:[1,1,0]
	v_pk_fma_f32 v[12:13], v[12:13], v[40:41], v[30:31] op_sel:[0,0,1] op_sel_hi:[0,1,0] neg_lo:[1,0,0] neg_hi:[1,0,0]
	v_mov_b32_e32 v39, v13
	v_pk_mul_f32 v[12:13], v[14:15], v[42:43] op_sel_hi:[0,1]
	v_pk_fma_f32 v[30:31], v[8:9], v[42:43], v[12:13] op_sel:[0,0,1] op_sel_hi:[1,1,0]
	v_pk_fma_f32 v[12:13], v[8:9], v[42:43], v[12:13] op_sel:[0,0,1] op_sel_hi:[0,1,0] neg_lo:[1,0,0] neg_hi:[1,0,0]
	v_mov_b32_e32 v31, v13
	v_pk_add_f32 v[12:13], v[38:39], v[30:31]
	v_pk_add_f32 v[40:41], v[38:39], v[30:31] neg_lo:[0,1] neg_hi:[0,1]
	v_pk_fma_f32 v[12:13], v[12:13], 0.5, v[10:11] op_sel_hi:[1,0,1] neg_lo:[1,0,0] neg_hi:[1,0,0]
	v_pk_mul_f32 v[40:41], v[40:41], s[2:3] op_sel_hi:[1,0]
	v_pk_add_f32 v[10:11], v[10:11], v[38:39]
	v_pk_add_f32 v[42:43], v[12:13], v[40:41] op_sel:[0,1] op_sel_hi:[1,0]
	v_pk_add_f32 v[12:13], v[12:13], v[40:41] op_sel:[0,1] op_sel_hi:[1,0] neg_lo:[0,1] neg_hi:[0,1]
	v_pk_add_f32 v[10:11], v[10:11], v[30:31]
	global_store_dwordx2 v[32:33], v[10:11], off
	v_mov_b32_e32 v10, v12
	v_mov_b32_e32 v11, v43
	global_store_dwordx2 v[34:35], v[10:11], off
	v_mad_u64_u32 v[10:11], s[4:5], s12, v1, 0
	v_mov_b32_e32 v8, v11
	v_mov_b32_e32 v43, v13
	v_mad_u64_u32 v[12:13], s[4:5], s13, v1, v[8:9]
	v_mov_b32_e32 v11, v12
	v_mad_u64_u32 v[12:13], s[4:5], s12, v7, 0
	;; [unrolled: 2-line block ×3, first 2 shown]
	v_add_u32_e32 v1, 0x240, v1
	v_mov_b32_e32 v13, v30
	v_mad_u64_u32 v[30:31], s[4:5], s12, v1, 0
	v_mov_b32_e32 v8, v31
	v_mad_u64_u32 v[32:33], s[4:5], s13, v1, v[8:9]
	v_mov_b32_e32 v31, v32
	v_mov_b32_e32 v8, v9
	v_lshl_add_u64 v[10:11], v[10:11], 3, v[16:17]
	global_store_dwordx2 v[36:37], v[42:43], off
	v_lshl_add_u64 v[12:13], v[12:13], 3, v[16:17]
	s_waitcnt vmcnt(4)
	v_pk_mul_f32 v[0:1], v[0:1], v[26:27] op_sel_hi:[0,1]
	v_pk_fma_f32 v[32:33], v[6:7], v[26:27], v[0:1] op_sel:[0,0,1] op_sel_hi:[1,1,0]
	v_pk_fma_f32 v[0:1], v[6:7], v[26:27], v[0:1] op_sel:[0,0,1] op_sel_hi:[0,1,0] neg_lo:[1,0,0] neg_hi:[1,0,0]
	v_mov_b32_e32 v0, v15
	v_mov_b32_e32 v33, v1
	v_pk_mul_f32 v[0:1], v[0:1], v[28:29] op_sel_hi:[0,1]
	v_mov_b32_e32 v6, v9
	v_pk_fma_f32 v[6:7], v[6:7], v[28:29], v[0:1] op_sel:[0,0,1] op_sel_hi:[1,1,0]
	v_pk_fma_f32 v[0:1], v[8:9], v[28:29], v[0:1] op_sel:[0,0,1] op_sel_hi:[0,1,0] neg_lo:[1,0,0] neg_hi:[1,0,0]
	v_mov_b32_e32 v7, v1
	v_pk_add_f32 v[0:1], v[32:33], v[6:7]
	v_pk_add_f32 v[8:9], v[32:33], v[6:7] neg_lo:[0,1] neg_hi:[0,1]
	s_waitcnt lgkmcnt(0)
	v_pk_fma_f32 v[0:1], v[0:1], 0.5, v[4:5] op_sel_hi:[1,0,1] neg_lo:[1,0,0] neg_hi:[1,0,0]
	v_pk_mul_f32 v[8:9], v[8:9], s[2:3] op_sel_hi:[1,0]
	v_pk_add_f32 v[4:5], v[4:5], v[32:33]
	v_pk_add_f32 v[14:15], v[0:1], v[8:9] op_sel:[0,1] op_sel_hi:[1,0]
	v_pk_add_f32 v[0:1], v[0:1], v[8:9] op_sel:[0,1] op_sel_hi:[1,0] neg_lo:[0,1] neg_hi:[0,1]
	v_pk_add_f32 v[4:5], v[4:5], v[6:7]
	v_lshl_add_u64 v[30:31], v[30:31], 3, v[16:17]
	global_store_dwordx2 v[10:11], v[4:5], off
	v_mov_b32_e32 v4, v0
	v_mov_b32_e32 v5, v15
	;; [unrolled: 1-line block ×3, first 2 shown]
	global_store_dwordx2 v[12:13], v[4:5], off
	global_store_dwordx2 v[30:31], v[14:15], off
	s_and_b64 exec, exec, s[0:1]
	s_cbranch_execz .LBB0_36
; %bb.40:
	v_subrev_u32_e32 v0, 18, v70
	v_cndmask_b32_e64 v0, v0, v46, s[0:1]
	v_lshlrev_b32_e32 v24, 1, v0
	v_lshl_add_u64 v[0:1], v[24:25], 3, s[8:9]
	global_load_dwordx4 v[4:7], v[0:1], off offset:2280
	v_mad_u64_u32 v[0:1], s[0:1], s12, v46, 0
	v_add_u32_e32 v15, 0x22e, v70
	v_add_u32_e32 v19, 0x34e, v70
	v_mov_b32_e32 v8, v1
	v_mad_u64_u32 v[10:11], s[0:1], s12, v15, 0
	v_mad_u64_u32 v[12:13], s[0:1], s12, v19, 0
	;; [unrolled: 1-line block ×3, first 2 shown]
	v_mov_b32_e32 v14, v11
	v_mov_b32_e32 v24, v13
	;; [unrolled: 1-line block ×3, first 2 shown]
	v_mad_u64_u32 v[8:9], s[0:1], s13, v15, v[14:15]
	v_mad_u64_u32 v[14:15], s[0:1], s13, v19, v[24:25]
	v_mov_b32_e32 v11, v8
	v_mov_b32_e32 v13, v14
	v_lshl_add_u64 v[8:9], v[10:11], 3, v[16:17]
	v_lshl_add_u64 v[10:11], v[12:13], 3, v[16:17]
	;; [unrolled: 1-line block ×3, first 2 shown]
	s_waitcnt vmcnt(0)
	v_pk_mul_f32 v[12:13], v[22:23], v[4:5] op_sel:[1,0]
	v_pk_mul_f32 v[14:15], v[22:23], v[6:7] op_sel_hi:[0,1]
	v_pk_fma_f32 v[16:17], v[18:19], v[4:5], v[12:13] op_sel:[0,0,1] op_sel_hi:[1,1,0]
	v_pk_fma_f32 v[4:5], v[18:19], v[4:5], v[12:13] op_sel:[0,0,1] op_sel_hi:[0,1,0] neg_lo:[1,0,0] neg_hi:[1,0,0]
	v_pk_fma_f32 v[12:13], v[20:21], v[6:7], v[14:15] op_sel:[0,0,1] op_sel_hi:[1,1,0]
	v_pk_fma_f32 v[6:7], v[20:21], v[6:7], v[14:15] op_sel:[0,0,1] op_sel_hi:[0,1,0] neg_lo:[1,0,0] neg_hi:[1,0,0]
	v_mov_b32_e32 v17, v5
	v_mov_b32_e32 v13, v7
	v_pk_add_f32 v[4:5], v[16:17], v[12:13]
	v_pk_add_f32 v[6:7], v[16:17], v[12:13] neg_lo:[0,1] neg_hi:[0,1]
	v_pk_add_f32 v[14:15], v[2:3], v[16:17]
	v_pk_fma_f32 v[2:3], -0.5, v[4:5], v[2:3] op_sel_hi:[0,1,1]
	v_pk_mul_f32 v[4:5], v[6:7], s[2:3] op_sel_hi:[1,0]
	v_pk_add_f32 v[6:7], v[14:15], v[12:13]
	v_pk_add_f32 v[12:13], v[2:3], v[4:5] op_sel:[0,1] op_sel_hi:[1,0] neg_lo:[0,1] neg_hi:[0,1]
	v_pk_add_f32 v[2:3], v[2:3], v[4:5] op_sel:[0,1] op_sel_hi:[1,0]
	global_store_dwordx2 v[0:1], v[6:7], off
	v_mov_b32_e32 v0, v12
	v_mov_b32_e32 v1, v3
	;; [unrolled: 1-line block ×3, first 2 shown]
	global_store_dwordx2 v[8:9], v[0:1], off
	global_store_dwordx2 v[10:11], v[2:3], off
	s_endpgm
	.section	.rodata,"a",@progbits
	.p2align	6, 0x0
	.amdhsa_kernel fft_rtc_back_len864_factors_3_6_16_3_wgs_54_tpt_54_halfLds_sp_ip_CI_sbrr_dirReg
		.amdhsa_group_segment_fixed_size 0
		.amdhsa_private_segment_fixed_size 0
		.amdhsa_kernarg_size 88
		.amdhsa_user_sgpr_count 2
		.amdhsa_user_sgpr_dispatch_ptr 0
		.amdhsa_user_sgpr_queue_ptr 0
		.amdhsa_user_sgpr_kernarg_segment_ptr 1
		.amdhsa_user_sgpr_dispatch_id 0
		.amdhsa_user_sgpr_kernarg_preload_length 0
		.amdhsa_user_sgpr_kernarg_preload_offset 0
		.amdhsa_user_sgpr_private_segment_size 0
		.amdhsa_uses_dynamic_stack 0
		.amdhsa_enable_private_segment 0
		.amdhsa_system_sgpr_workgroup_id_x 1
		.amdhsa_system_sgpr_workgroup_id_y 0
		.amdhsa_system_sgpr_workgroup_id_z 0
		.amdhsa_system_sgpr_workgroup_info 0
		.amdhsa_system_vgpr_workitem_id 0
		.amdhsa_next_free_vgpr 106
		.amdhsa_next_free_sgpr 24
		.amdhsa_accum_offset 108
		.amdhsa_reserve_vcc 1
		.amdhsa_float_round_mode_32 0
		.amdhsa_float_round_mode_16_64 0
		.amdhsa_float_denorm_mode_32 3
		.amdhsa_float_denorm_mode_16_64 3
		.amdhsa_dx10_clamp 1
		.amdhsa_ieee_mode 1
		.amdhsa_fp16_overflow 0
		.amdhsa_tg_split 0
		.amdhsa_exception_fp_ieee_invalid_op 0
		.amdhsa_exception_fp_denorm_src 0
		.amdhsa_exception_fp_ieee_div_zero 0
		.amdhsa_exception_fp_ieee_overflow 0
		.amdhsa_exception_fp_ieee_underflow 0
		.amdhsa_exception_fp_ieee_inexact 0
		.amdhsa_exception_int_div_zero 0
	.end_amdhsa_kernel
	.text
.Lfunc_end0:
	.size	fft_rtc_back_len864_factors_3_6_16_3_wgs_54_tpt_54_halfLds_sp_ip_CI_sbrr_dirReg, .Lfunc_end0-fft_rtc_back_len864_factors_3_6_16_3_wgs_54_tpt_54_halfLds_sp_ip_CI_sbrr_dirReg
                                        ; -- End function
	.section	.AMDGPU.csdata,"",@progbits
; Kernel info:
; codeLenInByte = 9644
; NumSgprs: 30
; NumVgprs: 106
; NumAgprs: 0
; TotalNumVgprs: 106
; ScratchSize: 0
; MemoryBound: 0
; FloatMode: 240
; IeeeMode: 1
; LDSByteSize: 0 bytes/workgroup (compile time only)
; SGPRBlocks: 3
; VGPRBlocks: 13
; NumSGPRsForWavesPerEU: 30
; NumVGPRsForWavesPerEU: 106
; AccumOffset: 108
; Occupancy: 4
; WaveLimiterHint : 1
; COMPUTE_PGM_RSRC2:SCRATCH_EN: 0
; COMPUTE_PGM_RSRC2:USER_SGPR: 2
; COMPUTE_PGM_RSRC2:TRAP_HANDLER: 0
; COMPUTE_PGM_RSRC2:TGID_X_EN: 1
; COMPUTE_PGM_RSRC2:TGID_Y_EN: 0
; COMPUTE_PGM_RSRC2:TGID_Z_EN: 0
; COMPUTE_PGM_RSRC2:TIDIG_COMP_CNT: 0
; COMPUTE_PGM_RSRC3_GFX90A:ACCUM_OFFSET: 26
; COMPUTE_PGM_RSRC3_GFX90A:TG_SPLIT: 0
	.text
	.p2alignl 6, 3212836864
	.fill 256, 4, 3212836864
	.type	__hip_cuid_d70564932511bc65,@object ; @__hip_cuid_d70564932511bc65
	.section	.bss,"aw",@nobits
	.globl	__hip_cuid_d70564932511bc65
__hip_cuid_d70564932511bc65:
	.byte	0                               ; 0x0
	.size	__hip_cuid_d70564932511bc65, 1

	.ident	"AMD clang version 19.0.0git (https://github.com/RadeonOpenCompute/llvm-project roc-6.4.0 25133 c7fe45cf4b819c5991fe208aaa96edf142730f1d)"
	.section	".note.GNU-stack","",@progbits
	.addrsig
	.addrsig_sym __hip_cuid_d70564932511bc65
	.amdgpu_metadata
---
amdhsa.kernels:
  - .agpr_count:     0
    .args:
      - .actual_access:  read_only
        .address_space:  global
        .offset:         0
        .size:           8
        .value_kind:     global_buffer
      - .offset:         8
        .size:           8
        .value_kind:     by_value
      - .actual_access:  read_only
        .address_space:  global
        .offset:         16
        .size:           8
        .value_kind:     global_buffer
      - .actual_access:  read_only
        .address_space:  global
        .offset:         24
        .size:           8
        .value_kind:     global_buffer
      - .offset:         32
        .size:           8
        .value_kind:     by_value
      - .actual_access:  read_only
        .address_space:  global
        .offset:         40
        .size:           8
        .value_kind:     global_buffer
      - .actual_access:  read_only
        .address_space:  global
        .offset:         48
        .size:           8
        .value_kind:     global_buffer
      - .offset:         56
        .size:           4
        .value_kind:     by_value
      - .actual_access:  read_only
        .address_space:  global
        .offset:         64
        .size:           8
        .value_kind:     global_buffer
      - .actual_access:  read_only
        .address_space:  global
        .offset:         72
        .size:           8
        .value_kind:     global_buffer
      - .address_space:  global
        .offset:         80
        .size:           8
        .value_kind:     global_buffer
    .group_segment_fixed_size: 0
    .kernarg_segment_align: 8
    .kernarg_segment_size: 88
    .language:       OpenCL C
    .language_version:
      - 2
      - 0
    .max_flat_workgroup_size: 54
    .name:           fft_rtc_back_len864_factors_3_6_16_3_wgs_54_tpt_54_halfLds_sp_ip_CI_sbrr_dirReg
    .private_segment_fixed_size: 0
    .sgpr_count:     30
    .sgpr_spill_count: 0
    .symbol:         fft_rtc_back_len864_factors_3_6_16_3_wgs_54_tpt_54_halfLds_sp_ip_CI_sbrr_dirReg.kd
    .uniform_work_group_size: 1
    .uses_dynamic_stack: false
    .vgpr_count:     106
    .vgpr_spill_count: 0
    .wavefront_size: 64
amdhsa.target:   amdgcn-amd-amdhsa--gfx950
amdhsa.version:
  - 1
  - 2
...

	.end_amdgpu_metadata
